;; amdgpu-corpus repo=ROCm/rocFFT kind=compiled arch=gfx1030 opt=O3
	.text
	.amdgcn_target "amdgcn-amd-amdhsa--gfx1030"
	.amdhsa_code_object_version 6
	.protected	fft_rtc_fwd_len3000_factors_10_3_10_10_wgs_100_tpt_100_halfLds_half_ip_CI_unitstride_sbrr_C2R_dirReg ; -- Begin function fft_rtc_fwd_len3000_factors_10_3_10_10_wgs_100_tpt_100_halfLds_half_ip_CI_unitstride_sbrr_C2R_dirReg
	.globl	fft_rtc_fwd_len3000_factors_10_3_10_10_wgs_100_tpt_100_halfLds_half_ip_CI_unitstride_sbrr_C2R_dirReg
	.p2align	8
	.type	fft_rtc_fwd_len3000_factors_10_3_10_10_wgs_100_tpt_100_halfLds_half_ip_CI_unitstride_sbrr_C2R_dirReg,@function
fft_rtc_fwd_len3000_factors_10_3_10_10_wgs_100_tpt_100_halfLds_half_ip_CI_unitstride_sbrr_C2R_dirReg: ; @fft_rtc_fwd_len3000_factors_10_3_10_10_wgs_100_tpt_100_halfLds_half_ip_CI_unitstride_sbrr_C2R_dirReg
; %bb.0:
	s_clause 0x2
	s_load_dwordx4 s[8:11], s[4:5], 0x0
	s_load_dwordx2 s[2:3], s[4:5], 0x50
	s_load_dwordx2 s[12:13], s[4:5], 0x18
	v_mul_u32_u24_e32 v1, 0x290, v0
	v_mov_b32_e32 v3, 0
	v_add_nc_u32_sdwa v5, s6, v1 dst_sel:DWORD dst_unused:UNUSED_PAD src0_sel:DWORD src1_sel:WORD_1
	v_mov_b32_e32 v1, 0
	v_mov_b32_e32 v6, v3
	v_mov_b32_e32 v2, 0
	s_waitcnt lgkmcnt(0)
	v_cmp_lt_u64_e64 s0, s[10:11], 2
	s_and_b32 vcc_lo, exec_lo, s0
	s_cbranch_vccnz .LBB0_8
; %bb.1:
	s_load_dwordx2 s[0:1], s[4:5], 0x10
	v_mov_b32_e32 v1, 0
	s_add_u32 s6, s12, 8
	v_mov_b32_e32 v2, 0
	s_addc_u32 s7, s13, 0
	s_mov_b64 s[16:17], 1
	s_waitcnt lgkmcnt(0)
	s_add_u32 s14, s0, 8
	s_addc_u32 s15, s1, 0
.LBB0_2:                                ; =>This Inner Loop Header: Depth=1
	s_load_dwordx2 s[18:19], s[14:15], 0x0
                                        ; implicit-def: $vgpr7_vgpr8
	s_mov_b32 s0, exec_lo
	s_waitcnt lgkmcnt(0)
	v_or_b32_e32 v4, s19, v6
	v_cmpx_ne_u64_e32 0, v[3:4]
	s_xor_b32 s1, exec_lo, s0
	s_cbranch_execz .LBB0_4
; %bb.3:                                ;   in Loop: Header=BB0_2 Depth=1
	v_cvt_f32_u32_e32 v4, s18
	v_cvt_f32_u32_e32 v7, s19
	s_sub_u32 s0, 0, s18
	s_subb_u32 s20, 0, s19
	v_fmac_f32_e32 v4, 0x4f800000, v7
	v_rcp_f32_e32 v4, v4
	v_mul_f32_e32 v4, 0x5f7ffffc, v4
	v_mul_f32_e32 v7, 0x2f800000, v4
	v_trunc_f32_e32 v7, v7
	v_fmac_f32_e32 v4, 0xcf800000, v7
	v_cvt_u32_f32_e32 v7, v7
	v_cvt_u32_f32_e32 v4, v4
	v_mul_lo_u32 v8, s0, v7
	v_mul_hi_u32 v9, s0, v4
	v_mul_lo_u32 v10, s20, v4
	v_add_nc_u32_e32 v8, v9, v8
	v_mul_lo_u32 v9, s0, v4
	v_add_nc_u32_e32 v8, v8, v10
	v_mul_hi_u32 v10, v4, v9
	v_mul_lo_u32 v11, v4, v8
	v_mul_hi_u32 v12, v4, v8
	v_mul_hi_u32 v13, v7, v9
	v_mul_lo_u32 v9, v7, v9
	v_mul_hi_u32 v14, v7, v8
	v_mul_lo_u32 v8, v7, v8
	v_add_co_u32 v10, vcc_lo, v10, v11
	v_add_co_ci_u32_e32 v11, vcc_lo, 0, v12, vcc_lo
	v_add_co_u32 v9, vcc_lo, v10, v9
	v_add_co_ci_u32_e32 v9, vcc_lo, v11, v13, vcc_lo
	v_add_co_ci_u32_e32 v10, vcc_lo, 0, v14, vcc_lo
	v_add_co_u32 v8, vcc_lo, v9, v8
	v_add_co_ci_u32_e32 v9, vcc_lo, 0, v10, vcc_lo
	v_add_co_u32 v4, vcc_lo, v4, v8
	v_add_co_ci_u32_e32 v7, vcc_lo, v7, v9, vcc_lo
	v_mul_hi_u32 v8, s0, v4
	v_mul_lo_u32 v10, s20, v4
	v_mul_lo_u32 v9, s0, v7
	v_add_nc_u32_e32 v8, v8, v9
	v_mul_lo_u32 v9, s0, v4
	v_add_nc_u32_e32 v8, v8, v10
	v_mul_hi_u32 v10, v4, v9
	v_mul_lo_u32 v11, v4, v8
	v_mul_hi_u32 v12, v4, v8
	v_mul_hi_u32 v13, v7, v9
	v_mul_lo_u32 v9, v7, v9
	v_mul_hi_u32 v14, v7, v8
	v_mul_lo_u32 v8, v7, v8
	v_add_co_u32 v10, vcc_lo, v10, v11
	v_add_co_ci_u32_e32 v11, vcc_lo, 0, v12, vcc_lo
	v_add_co_u32 v9, vcc_lo, v10, v9
	v_add_co_ci_u32_e32 v9, vcc_lo, v11, v13, vcc_lo
	v_add_co_ci_u32_e32 v10, vcc_lo, 0, v14, vcc_lo
	v_add_co_u32 v8, vcc_lo, v9, v8
	v_add_co_ci_u32_e32 v9, vcc_lo, 0, v10, vcc_lo
	v_add_co_u32 v4, vcc_lo, v4, v8
	v_add_co_ci_u32_e32 v11, vcc_lo, v7, v9, vcc_lo
	v_mul_hi_u32 v13, v5, v4
	v_mad_u64_u32 v[9:10], null, v6, v4, 0
	v_mad_u64_u32 v[7:8], null, v5, v11, 0
	;; [unrolled: 1-line block ×3, first 2 shown]
	v_add_co_u32 v4, vcc_lo, v13, v7
	v_add_co_ci_u32_e32 v7, vcc_lo, 0, v8, vcc_lo
	v_add_co_u32 v4, vcc_lo, v4, v9
	v_add_co_ci_u32_e32 v4, vcc_lo, v7, v10, vcc_lo
	v_add_co_ci_u32_e32 v7, vcc_lo, 0, v12, vcc_lo
	v_add_co_u32 v4, vcc_lo, v4, v11
	v_add_co_ci_u32_e32 v9, vcc_lo, 0, v7, vcc_lo
	v_mul_lo_u32 v10, s19, v4
	v_mad_u64_u32 v[7:8], null, s18, v4, 0
	v_mul_lo_u32 v11, s18, v9
	v_sub_co_u32 v7, vcc_lo, v5, v7
	v_add3_u32 v8, v8, v11, v10
	v_sub_nc_u32_e32 v10, v6, v8
	v_subrev_co_ci_u32_e64 v10, s0, s19, v10, vcc_lo
	v_add_co_u32 v11, s0, v4, 2
	v_add_co_ci_u32_e64 v12, s0, 0, v9, s0
	v_sub_co_u32 v13, s0, v7, s18
	v_sub_co_ci_u32_e32 v8, vcc_lo, v6, v8, vcc_lo
	v_subrev_co_ci_u32_e64 v10, s0, 0, v10, s0
	v_cmp_le_u32_e32 vcc_lo, s18, v13
	v_cmp_eq_u32_e64 s0, s19, v8
	v_cndmask_b32_e64 v13, 0, -1, vcc_lo
	v_cmp_le_u32_e32 vcc_lo, s19, v10
	v_cndmask_b32_e64 v14, 0, -1, vcc_lo
	v_cmp_le_u32_e32 vcc_lo, s18, v7
	;; [unrolled: 2-line block ×3, first 2 shown]
	v_cndmask_b32_e64 v15, 0, -1, vcc_lo
	v_cmp_eq_u32_e32 vcc_lo, s19, v10
	v_cndmask_b32_e64 v7, v15, v7, s0
	v_cndmask_b32_e32 v10, v14, v13, vcc_lo
	v_add_co_u32 v13, vcc_lo, v4, 1
	v_add_co_ci_u32_e32 v14, vcc_lo, 0, v9, vcc_lo
	v_cmp_ne_u32_e32 vcc_lo, 0, v10
	v_cndmask_b32_e32 v8, v14, v12, vcc_lo
	v_cndmask_b32_e32 v10, v13, v11, vcc_lo
	v_cmp_ne_u32_e32 vcc_lo, 0, v7
	v_cndmask_b32_e32 v8, v9, v8, vcc_lo
	v_cndmask_b32_e32 v7, v4, v10, vcc_lo
.LBB0_4:                                ;   in Loop: Header=BB0_2 Depth=1
	s_andn2_saveexec_b32 s0, s1
	s_cbranch_execz .LBB0_6
; %bb.5:                                ;   in Loop: Header=BB0_2 Depth=1
	v_cvt_f32_u32_e32 v4, s18
	s_sub_i32 s1, 0, s18
	v_rcp_iflag_f32_e32 v4, v4
	v_mul_f32_e32 v4, 0x4f7ffffe, v4
	v_cvt_u32_f32_e32 v4, v4
	v_mul_lo_u32 v7, s1, v4
	v_mul_hi_u32 v7, v4, v7
	v_add_nc_u32_e32 v4, v4, v7
	v_mul_hi_u32 v4, v5, v4
	v_mul_lo_u32 v7, v4, s18
	v_add_nc_u32_e32 v8, 1, v4
	v_sub_nc_u32_e32 v7, v5, v7
	v_subrev_nc_u32_e32 v9, s18, v7
	v_cmp_le_u32_e32 vcc_lo, s18, v7
	v_cndmask_b32_e32 v7, v7, v9, vcc_lo
	v_cndmask_b32_e32 v4, v4, v8, vcc_lo
	v_cmp_le_u32_e32 vcc_lo, s18, v7
	v_add_nc_u32_e32 v8, 1, v4
	v_cndmask_b32_e32 v7, v4, v8, vcc_lo
	v_mov_b32_e32 v8, v3
.LBB0_6:                                ;   in Loop: Header=BB0_2 Depth=1
	s_or_b32 exec_lo, exec_lo, s0
	s_load_dwordx2 s[0:1], s[6:7], 0x0
	v_mul_lo_u32 v4, v8, s18
	v_mul_lo_u32 v11, v7, s19
	v_mad_u64_u32 v[9:10], null, v7, s18, 0
	s_add_u32 s16, s16, 1
	s_addc_u32 s17, s17, 0
	s_add_u32 s6, s6, 8
	s_addc_u32 s7, s7, 0
	;; [unrolled: 2-line block ×3, first 2 shown]
	v_add3_u32 v4, v10, v11, v4
	v_sub_co_u32 v5, vcc_lo, v5, v9
	v_sub_co_ci_u32_e32 v4, vcc_lo, v6, v4, vcc_lo
	s_waitcnt lgkmcnt(0)
	v_mul_lo_u32 v6, s1, v5
	v_mul_lo_u32 v4, s0, v4
	v_mad_u64_u32 v[1:2], null, s0, v5, v[1:2]
	v_cmp_ge_u64_e64 s0, s[16:17], s[10:11]
	s_and_b32 vcc_lo, exec_lo, s0
	v_add3_u32 v2, v6, v2, v4
	s_cbranch_vccnz .LBB0_9
; %bb.7:                                ;   in Loop: Header=BB0_2 Depth=1
	v_mov_b32_e32 v5, v7
	v_mov_b32_e32 v6, v8
	s_branch .LBB0_2
.LBB0_8:
	v_mov_b32_e32 v8, v6
	v_mov_b32_e32 v7, v5
.LBB0_9:
	s_lshl_b64 s[0:1], s[10:11], 3
	v_mul_hi_u32 v5, 0x28f5c29, v0
	s_add_u32 s0, s12, s0
	s_addc_u32 s1, s13, s1
	s_load_dwordx2 s[0:1], s[0:1], 0x0
	s_load_dwordx2 s[4:5], s[4:5], 0x20
	s_waitcnt lgkmcnt(0)
	v_mul_lo_u32 v3, s0, v8
	v_mul_lo_u32 v4, s1, v7
	v_mad_u64_u32 v[1:2], null, s0, v7, v[1:2]
	v_cmp_gt_u64_e32 vcc_lo, s[4:5], v[7:8]
	v_add3_u32 v2, v4, v2, v3
	v_mul_u32_u24_e32 v3, 0x64, v5
	v_lshlrev_b64 v[26:27], 2, v[1:2]
	v_sub_nc_u32_e32 v24, v0, v3
	s_and_saveexec_b32 s1, vcc_lo
	s_cbranch_execz .LBB0_13
; %bb.10:
	v_mov_b32_e32 v25, 0
	v_add_co_u32 v0, s0, s2, v26
	v_add_co_ci_u32_e64 v1, s0, s3, v27, s0
	v_lshlrev_b64 v[2:3], 2, v[24:25]
	v_add_co_u32 v2, s0, v0, v2
	v_add_co_ci_u32_e64 v3, s0, v1, v3, s0
	v_add_co_u32 v4, s0, 0x800, v2
	v_add_co_ci_u32_e64 v5, s0, 0, v3, s0
	;; [unrolled: 2-line block ×3, first 2 shown]
	s_clause 0xf
	global_load_dword v8, v[2:3], off
	global_load_dword v9, v[2:3], off offset:400
	global_load_dword v10, v[2:3], off offset:800
	;; [unrolled: 1-line block ×15, first 2 shown]
	v_add_co_u32 v4, s0, 0x1800, v2
	v_add_co_ci_u32_e64 v5, s0, 0, v3, s0
	v_add_co_u32 v6, s0, 0x2000, v2
	v_add_co_ci_u32_e64 v7, s0, 0, v3, s0
	;; [unrolled: 2-line block ×3, first 2 shown]
	s_clause 0xd
	global_load_dword v28, v[4:5], off offset:256
	global_load_dword v29, v[4:5], off offset:656
	;; [unrolled: 1-line block ×14, first 2 shown]
	v_lshl_add_u32 v3, v24, 2, 0
	v_cmp_eq_u32_e64 s0, 0x63, v24
	v_add_nc_u32_e32 v37, 0x200, v3
	v_add_nc_u32_e32 v38, 0x400, v3
	;; [unrolled: 1-line block ×14, first 2 shown]
	s_waitcnt vmcnt(28)
	ds_write2_b32 v3, v8, v9 offset1:100
	s_waitcnt vmcnt(26)
	ds_write2_b32 v37, v10, v11 offset0:72 offset1:172
	s_waitcnt vmcnt(24)
	ds_write2_b32 v38, v12, v13 offset0:144 offset1:244
	s_waitcnt vmcnt(22)
	ds_write2_b32 v39, v14, v15 offset0:88 offset1:188
	s_waitcnt vmcnt(20)
	ds_write2_b32 v40, v16, v17 offset0:32 offset1:132
	s_waitcnt vmcnt(18)
	ds_write2_b32 v41, v18, v19 offset0:104 offset1:204
	s_waitcnt vmcnt(16)
	ds_write2_b32 v42, v20, v21 offset0:48 offset1:148
	s_waitcnt vmcnt(14)
	ds_write2_b32 v43, v22, v23 offset0:120 offset1:220
	s_waitcnt vmcnt(12)
	ds_write2_b32 v44, v28, v29 offset0:64 offset1:164
	s_waitcnt vmcnt(10)
	ds_write2_b32 v45, v30, v31 offset0:8 offset1:108
	s_waitcnt vmcnt(8)
	ds_write2_b32 v46, v4, v5 offset0:80 offset1:180
	s_waitcnt vmcnt(6)
	ds_write2_b32 v47, v32, v33 offset0:152 offset1:252
	s_waitcnt vmcnt(4)
	ds_write2_b32 v48, v34, v6 offset0:96 offset1:196
	s_waitcnt vmcnt(2)
	ds_write2_b32 v49, v7, v35 offset0:40 offset1:140
	s_waitcnt vmcnt(0)
	ds_write2_b32 v50, v36, v2 offset0:112 offset1:212
	s_and_saveexec_b32 s4, s0
	s_cbranch_execz .LBB0_12
; %bb.11:
	v_add_co_u32 v0, s0, 0x2800, v0
	v_add_co_ci_u32_e64 v1, s0, 0, v1, s0
	v_mov_b32_e32 v24, 0x63
	global_load_dword v0, v[0:1], off offset:1760
	s_waitcnt vmcnt(0)
	ds_write_b32 v25, v0 offset:12000
.LBB0_12:
	s_or_b32 exec_lo, exec_lo, s4
.LBB0_13:
	s_or_b32 exec_lo, exec_lo, s1
	v_lshlrev_b32_e32 v0, 2, v24
	s_waitcnt lgkmcnt(0)
	s_barrier
	buffer_gl0_inv
	s_add_u32 s1, s8, 0x2eb8
	v_add_nc_u32_e32 v34, 0, v0
	v_sub_nc_u32_e32 v2, 0, v0
	s_addc_u32 s4, s9, 0
	s_mov_b32 s5, exec_lo
                                        ; implicit-def: $vgpr0_vgpr1
	ds_read_u16 v5, v34
	ds_read_u16 v6, v2 offset:12000
	s_waitcnt lgkmcnt(0)
	v_add_f16_e32 v4, v6, v5
	v_sub_f16_e32 v3, v5, v6
	v_cmpx_ne_u32_e32 0, v24
	s_xor_b32 s5, exec_lo, s5
	s_cbranch_execz .LBB0_15
; %bb.14:
	v_mov_b32_e32 v25, 0
	v_add_f16_e32 v4, v6, v5
	v_sub_f16_e32 v5, v5, v6
	v_lshlrev_b64 v[0:1], 2, v[24:25]
	v_add_co_u32 v0, s0, s1, v0
	v_add_co_ci_u32_e64 v1, s0, s4, v1, s0
	global_load_dword v0, v[0:1], off
	ds_read_u16 v1, v2 offset:12002
	ds_read_u16 v3, v34 offset:2
	s_waitcnt lgkmcnt(0)
	v_add_f16_e32 v6, v1, v3
	v_sub_f16_e32 v1, v3, v1
	s_waitcnt vmcnt(0)
	v_lshrrev_b32_e32 v7, 16, v0
	v_fma_f16 v8, -v5, v7, v4
	v_fma_f16 v9, v6, v7, -v1
	v_fma_f16 v3, v6, v7, v1
	v_fma_f16 v4, v5, v7, v4
	v_fmac_f16_e32 v8, v0, v6
	v_fmac_f16_e32 v9, v5, v0
	;; [unrolled: 1-line block ×3, first 2 shown]
	v_fma_f16 v4, -v0, v6, v4
	v_mov_b32_e32 v0, v24
	v_mov_b32_e32 v1, v25
	v_pack_b32_f16 v5, v8, v9
	ds_write_b32 v2, v5 offset:12000
.LBB0_15:
	s_andn2_saveexec_b32 s0, s5
	s_cbranch_execz .LBB0_17
; %bb.16:
	v_mov_b32_e32 v5, 0
	ds_read_b32 v0, v5 offset:6000
	s_waitcnt lgkmcnt(0)
	v_pk_mul_f16 v6, 0xc0004000, v0
	v_mov_b32_e32 v0, 0
	v_mov_b32_e32 v1, 0
	ds_write_b32 v5, v6 offset:6000
.LBB0_17:
	s_or_b32 exec_lo, exec_lo, s0
	v_lshlrev_b64 v[0:1], 2, v[0:1]
	v_perm_b32 v3, v3, v4, 0x5040100
	v_add_nc_u32_e32 v25, 0x800, v34
	v_add_nc_u32_e32 v35, 0x1200, v34
	;; [unrolled: 1-line block ×4, first 2 shown]
	v_add_co_u32 v0, s0, s1, v0
	v_add_co_ci_u32_e64 v1, s0, s4, v1, s0
	v_add_nc_u32_e32 v38, 0x200, v34
	v_add_co_u32 v5, s0, 0x800, v0
	s_clause 0x4
	global_load_dword v7, v[0:1], off offset:400
	global_load_dword v8, v[0:1], off offset:800
	;; [unrolled: 1-line block ×5, first 2 shown]
	v_add_co_ci_u32_e64 v6, s0, 0, v1, s0
	v_add_co_u32 v0, s0, 0x1000, v0
	s_clause 0x1
	global_load_dword v12, v[5:6], off offset:352
	global_load_dword v13, v[5:6], off offset:752
	ds_write_b32 v34, v3
	ds_read_b32 v3, v34 offset:400
	ds_read_b32 v4, v2 offset:11600
	global_load_dword v14, v[5:6], off offset:1152
	v_add_co_ci_u32_e64 v1, s0, 0, v1, s0
	v_add_nc_u32_e32 v40, 0x1400, v34
	v_add_nc_u32_e32 v39, 0x1e00, v34
	;; [unrolled: 1-line block ×9, first 2 shown]
	v_and_b32_e32 v22, 0xff, v24
	v_add_nc_u16 v21, v24, 0x64
	v_add_nc_u32_e32 v20, 0xc8, v24
	s_waitcnt lgkmcnt(0)
	v_add_f16_e32 v15, v3, v4
	v_add_f16_sdwa v16, v4, v3 dst_sel:DWORD dst_unused:UNUSED_PAD src0_sel:WORD_1 src1_sel:WORD_1
	v_sub_f16_e32 v17, v3, v4
	v_sub_f16_sdwa v3, v3, v4 dst_sel:DWORD dst_unused:UNUSED_PAD src0_sel:WORD_1 src1_sel:WORD_1
	s_waitcnt vmcnt(7)
	v_lshrrev_b32_e32 v18, 16, v7
	v_fma_f16 v4, v17, v18, v15
	v_fma_f16 v19, v16, v18, v3
	v_fma_f16 v15, -v17, v18, v15
	v_fma_f16 v3, v16, v18, -v3
	v_fma_f16 v4, -v7, v16, v4
	v_fmac_f16_e32 v19, v17, v7
	v_fmac_f16_e32 v15, v7, v16
	;; [unrolled: 1-line block ×3, first 2 shown]
	s_waitcnt vmcnt(6)
	v_lshrrev_b32_e32 v7, 16, v8
	v_pack_b32_f16 v4, v4, v19
	v_pack_b32_f16 v3, v15, v3
	ds_write_b32 v34, v4 offset:400
	ds_write_b32 v2, v3 offset:11600
	ds_read_b32 v3, v34 offset:800
	ds_read_b32 v4, v2 offset:11200
	s_waitcnt lgkmcnt(0)
	v_add_f16_e32 v15, v3, v4
	v_add_f16_sdwa v16, v4, v3 dst_sel:DWORD dst_unused:UNUSED_PAD src0_sel:WORD_1 src1_sel:WORD_1
	v_sub_f16_e32 v17, v3, v4
	v_sub_f16_sdwa v3, v3, v4 dst_sel:DWORD dst_unused:UNUSED_PAD src0_sel:WORD_1 src1_sel:WORD_1
	global_load_dword v4, v[5:6], off offset:1552
	v_fma_f16 v18, v17, v7, v15
	v_fma_f16 v19, v16, v7, v3
	v_fma_f16 v15, -v17, v7, v15
	v_fma_f16 v3, v16, v7, -v3
	v_fma_f16 v7, -v8, v16, v18
	v_fmac_f16_e32 v19, v17, v8
	v_fmac_f16_e32 v15, v8, v16
	;; [unrolled: 1-line block ×3, first 2 shown]
	s_waitcnt vmcnt(6)
	v_lshrrev_b32_e32 v8, 16, v9
	v_pack_b32_f16 v7, v7, v19
	v_pack_b32_f16 v3, v15, v3
	ds_write_b32 v34, v7 offset:800
	ds_write_b32 v2, v3 offset:11200
	ds_read_b32 v3, v34 offset:1200
	ds_read_b32 v7, v2 offset:10800
	global_load_dword v5, v[5:6], off offset:1952
	s_waitcnt lgkmcnt(0)
	v_add_f16_e32 v15, v3, v7
	v_add_f16_sdwa v16, v7, v3 dst_sel:DWORD dst_unused:UNUSED_PAD src0_sel:WORD_1 src1_sel:WORD_1
	v_sub_f16_e32 v17, v3, v7
	v_sub_f16_sdwa v3, v3, v7 dst_sel:DWORD dst_unused:UNUSED_PAD src0_sel:WORD_1 src1_sel:WORD_1
	v_fma_f16 v6, v17, v8, v15
	v_fma_f16 v7, v16, v8, v3
	v_fma_f16 v15, -v17, v8, v15
	v_fma_f16 v3, v16, v8, -v3
	v_fma_f16 v6, -v9, v16, v6
	v_fmac_f16_e32 v7, v17, v9
	v_fmac_f16_e32 v15, v9, v16
	v_fmac_f16_e32 v3, v17, v9
	v_pack_b32_f16 v6, v6, v7
	s_waitcnt vmcnt(6)
	v_lshrrev_b32_e32 v7, 16, v10
	v_pack_b32_f16 v3, v15, v3
	ds_write_b32 v34, v6 offset:1200
	ds_write_b32 v2, v3 offset:10800
	ds_read_b32 v3, v34 offset:1600
	ds_read_b32 v6, v2 offset:10400
	s_waitcnt lgkmcnt(0)
	v_add_f16_e32 v8, v3, v6
	v_add_f16_sdwa v9, v6, v3 dst_sel:DWORD dst_unused:UNUSED_PAD src0_sel:WORD_1 src1_sel:WORD_1
	v_sub_f16_e32 v15, v3, v6
	v_sub_f16_sdwa v3, v3, v6 dst_sel:DWORD dst_unused:UNUSED_PAD src0_sel:WORD_1 src1_sel:WORD_1
	global_load_dword v6, v[0:1], off offset:304
	v_fma_f16 v16, v15, v7, v8
	v_fma_f16 v17, v9, v7, v3
	v_fma_f16 v8, -v15, v7, v8
	v_fma_f16 v3, v9, v7, -v3
	v_fma_f16 v7, -v10, v9, v16
	v_fmac_f16_e32 v17, v15, v10
	v_fmac_f16_e32 v8, v10, v9
	;; [unrolled: 1-line block ×3, first 2 shown]
	v_pack_b32_f16 v7, v7, v17
	v_pack_b32_f16 v3, v8, v3
	ds_write_b32 v34, v7 offset:1600
	ds_write_b32 v2, v3 offset:10400
	ds_read_b32 v3, v34 offset:2000
	ds_read_b32 v7, v2 offset:10000
	s_waitcnt vmcnt(6)
	v_lshrrev_b32_e32 v8, 16, v11
	s_waitcnt lgkmcnt(0)
	v_add_f16_e32 v9, v3, v7
	v_add_f16_sdwa v10, v7, v3 dst_sel:DWORD dst_unused:UNUSED_PAD src0_sel:WORD_1 src1_sel:WORD_1
	v_sub_f16_e32 v15, v3, v7
	v_sub_f16_sdwa v3, v3, v7 dst_sel:DWORD dst_unused:UNUSED_PAD src0_sel:WORD_1 src1_sel:WORD_1
	global_load_dword v7, v[0:1], off offset:704
	v_fma_f16 v16, v15, v8, v9
	v_fma_f16 v17, v10, v8, v3
	v_fma_f16 v9, -v15, v8, v9
	v_fma_f16 v3, v10, v8, -v3
	v_fma_f16 v8, -v11, v10, v16
	v_fmac_f16_e32 v17, v15, v11
	v_fmac_f16_e32 v9, v11, v10
	;; [unrolled: 1-line block ×3, first 2 shown]
	v_pack_b32_f16 v8, v8, v17
	v_pack_b32_f16 v3, v9, v3
	ds_write_b32 v34, v8 offset:2000
	ds_write_b32 v2, v3 offset:10000
	ds_read_b32 v3, v34 offset:2400
	ds_read_b32 v8, v2 offset:9600
	s_waitcnt vmcnt(6)
	v_lshrrev_b32_e32 v9, 16, v12
	s_waitcnt lgkmcnt(0)
	v_add_f16_e32 v10, v3, v8
	v_add_f16_sdwa v11, v8, v3 dst_sel:DWORD dst_unused:UNUSED_PAD src0_sel:WORD_1 src1_sel:WORD_1
	v_sub_f16_e32 v15, v3, v8
	v_sub_f16_sdwa v3, v3, v8 dst_sel:DWORD dst_unused:UNUSED_PAD src0_sel:WORD_1 src1_sel:WORD_1
	global_load_dword v8, v[0:1], off offset:1104
	v_fma_f16 v16, v15, v9, v10
	v_fma_f16 v17, v11, v9, v3
	v_fma_f16 v10, -v15, v9, v10
	v_fma_f16 v3, v11, v9, -v3
	v_fma_f16 v9, -v12, v11, v16
	v_fmac_f16_e32 v17, v15, v12
	v_fmac_f16_e32 v10, v12, v11
	;; [unrolled: 1-line block ×3, first 2 shown]
	v_pack_b32_f16 v9, v9, v17
	v_pack_b32_f16 v3, v10, v3
	ds_write_b32 v34, v9 offset:2400
	ds_write_b32 v2, v3 offset:9600
	ds_read_b32 v3, v34 offset:2800
	ds_read_b32 v9, v2 offset:9200
	global_load_dword v0, v[0:1], off offset:1504
	s_waitcnt vmcnt(7)
	v_lshrrev_b32_e32 v10, 16, v13
	s_waitcnt lgkmcnt(0)
	v_add_f16_e32 v11, v3, v9
	v_add_f16_sdwa v12, v9, v3 dst_sel:DWORD dst_unused:UNUSED_PAD src0_sel:WORD_1 src1_sel:WORD_1
	v_sub_f16_e32 v15, v3, v9
	v_sub_f16_sdwa v3, v3, v9 dst_sel:DWORD dst_unused:UNUSED_PAD src0_sel:WORD_1 src1_sel:WORD_1
	v_fma_f16 v1, v15, v10, v11
	v_fma_f16 v9, v12, v10, v3
	v_fma_f16 v11, -v15, v10, v11
	v_fma_f16 v3, v12, v10, -v3
	v_fma_f16 v1, -v13, v12, v1
	v_fmac_f16_e32 v9, v15, v13
	v_fmac_f16_e32 v11, v13, v12
	;; [unrolled: 1-line block ×3, first 2 shown]
	v_pack_b32_f16 v1, v1, v9
	s_waitcnt vmcnt(6)
	v_lshrrev_b32_e32 v9, 16, v14
	v_pack_b32_f16 v3, v11, v3
	ds_write_b32 v34, v1 offset:2800
	ds_write_b32 v2, v3 offset:9200
	ds_read_b32 v1, v34 offset:3200
	ds_read_b32 v3, v2 offset:8800
	s_waitcnt lgkmcnt(0)
	v_add_f16_e32 v10, v1, v3
	v_add_f16_sdwa v11, v3, v1 dst_sel:DWORD dst_unused:UNUSED_PAD src0_sel:WORD_1 src1_sel:WORD_1
	v_sub_f16_e32 v12, v1, v3
	v_sub_f16_sdwa v1, v1, v3 dst_sel:DWORD dst_unused:UNUSED_PAD src0_sel:WORD_1 src1_sel:WORD_1
	v_fma_f16 v3, v12, v9, v10
	v_fma_f16 v13, v11, v9, v1
	v_fma_f16 v10, -v12, v9, v10
	v_fma_f16 v1, v11, v9, -v1
	v_fma_f16 v3, -v14, v11, v3
	v_fmac_f16_e32 v13, v12, v14
	v_fmac_f16_e32 v10, v14, v11
	;; [unrolled: 1-line block ×3, first 2 shown]
	v_pack_b32_f16 v3, v3, v13
	v_pack_b32_f16 v1, v10, v1
	ds_write_b32 v34, v3 offset:3200
	ds_write_b32 v2, v1 offset:8800
	ds_read_b32 v1, v34 offset:3600
	ds_read_b32 v3, v2 offset:8400
	s_waitcnt lgkmcnt(0)
	v_add_f16_e32 v10, v1, v3
	v_add_f16_sdwa v11, v3, v1 dst_sel:DWORD dst_unused:UNUSED_PAD src0_sel:WORD_1 src1_sel:WORD_1
	v_sub_f16_e32 v12, v1, v3
	v_sub_f16_sdwa v1, v1, v3 dst_sel:DWORD dst_unused:UNUSED_PAD src0_sel:WORD_1 src1_sel:WORD_1
	s_waitcnt vmcnt(5)
	v_lshrrev_b32_e32 v9, 16, v4
	v_fma_f16 v3, v12, v9, v10
	v_fma_f16 v13, v11, v9, v1
	v_fma_f16 v10, -v12, v9, v10
	v_fma_f16 v1, v11, v9, -v1
	v_fma_f16 v3, -v4, v11, v3
	v_fmac_f16_e32 v13, v12, v4
	v_fmac_f16_e32 v10, v4, v11
	;; [unrolled: 1-line block ×3, first 2 shown]
	v_pack_b32_f16 v3, v3, v13
	v_mov_b32_e32 v13, 0xcccd
	v_pack_b32_f16 v1, v10, v1
	ds_write_b32 v34, v3 offset:3600
	ds_write_b32 v2, v1 offset:8400
	ds_read_b32 v1, v34 offset:4000
	ds_read_b32 v3, v2 offset:8000
	s_waitcnt vmcnt(4)
	v_lshrrev_b32_e32 v4, 16, v5
	s_waitcnt lgkmcnt(0)
	v_add_f16_e32 v9, v1, v3
	v_add_f16_sdwa v10, v3, v1 dst_sel:DWORD dst_unused:UNUSED_PAD src0_sel:WORD_1 src1_sel:WORD_1
	v_sub_f16_e32 v11, v1, v3
	v_sub_f16_sdwa v1, v1, v3 dst_sel:DWORD dst_unused:UNUSED_PAD src0_sel:WORD_1 src1_sel:WORD_1
	v_fma_f16 v3, v11, v4, v9
	v_fma_f16 v12, v10, v4, v1
	v_fma_f16 v9, -v11, v4, v9
	v_fma_f16 v1, v10, v4, -v1
	v_fma_f16 v3, -v5, v10, v3
	v_fmac_f16_e32 v12, v11, v5
	v_fmac_f16_e32 v9, v5, v10
	;; [unrolled: 1-line block ×3, first 2 shown]
	v_pack_b32_f16 v3, v3, v12
	v_mov_b32_e32 v12, 3
	v_pack_b32_f16 v1, v9, v1
	ds_write_b32 v34, v3 offset:4000
	ds_write_b32 v2, v1 offset:8000
	ds_read_b32 v1, v34 offset:4400
	ds_read_b32 v3, v2 offset:7600
	s_waitcnt lgkmcnt(0)
	v_add_f16_e32 v5, v1, v3
	v_add_f16_sdwa v9, v3, v1 dst_sel:DWORD dst_unused:UNUSED_PAD src0_sel:WORD_1 src1_sel:WORD_1
	s_waitcnt vmcnt(3)
	v_lshrrev_b32_e32 v4, 16, v6
	v_sub_f16_e32 v10, v1, v3
	v_sub_f16_sdwa v1, v1, v3 dst_sel:DWORD dst_unused:UNUSED_PAD src0_sel:WORD_1 src1_sel:WORD_1
	v_fma_f16 v3, v10, v4, v5
	v_fma_f16 v11, v9, v4, v1
	v_fma_f16 v5, -v10, v4, v5
	v_fma_f16 v1, v9, v4, -v1
	v_fma_f16 v3, -v6, v9, v3
	v_fmac_f16_e32 v11, v10, v6
	v_fmac_f16_e32 v5, v6, v9
	;; [unrolled: 1-line block ×3, first 2 shown]
	v_pack_b32_f16 v3, v3, v11
	v_add_nc_u32_e32 v11, 0x190, v24
	v_pack_b32_f16 v1, v5, v1
	ds_write_b32 v34, v3 offset:4400
	ds_write_b32 v2, v1 offset:7600
	ds_read_b32 v1, v34 offset:4800
	ds_read_b32 v3, v2 offset:7200
	s_waitcnt lgkmcnt(0)
	v_add_f16_e32 v5, v1, v3
	s_waitcnt vmcnt(2)
	v_lshrrev_b32_e32 v4, 16, v7
	v_add_f16_sdwa v6, v3, v1 dst_sel:DWORD dst_unused:UNUSED_PAD src0_sel:WORD_1 src1_sel:WORD_1
	v_sub_f16_e32 v9, v1, v3
	v_sub_f16_sdwa v1, v1, v3 dst_sel:DWORD dst_unused:UNUSED_PAD src0_sel:WORD_1 src1_sel:WORD_1
	v_fma_f16 v3, v9, v4, v5
	v_fma_f16 v10, v6, v4, v1
	v_fma_f16 v5, -v9, v4, v5
	v_fma_f16 v1, v6, v4, -v1
	v_fma_f16 v3, -v7, v6, v3
	v_fmac_f16_e32 v10, v9, v7
	v_fmac_f16_e32 v5, v7, v6
	;; [unrolled: 1-line block ×3, first 2 shown]
	v_pack_b32_f16 v3, v3, v10
	v_add_nc_u32_e32 v10, 0x12c, v24
	v_pack_b32_f16 v1, v5, v1
	ds_write_b32 v34, v3 offset:4800
	ds_write_b32 v2, v1 offset:7200
	ds_read_b32 v1, v34 offset:5200
	ds_read_b32 v3, v2 offset:6800
	s_waitcnt vmcnt(1)
	v_lshrrev_b32_e32 v4, 16, v8
	s_waitcnt lgkmcnt(0)
	v_add_f16_e32 v5, v1, v3
	v_add_f16_sdwa v6, v3, v1 dst_sel:DWORD dst_unused:UNUSED_PAD src0_sel:WORD_1 src1_sel:WORD_1
	v_sub_f16_e32 v7, v1, v3
	v_sub_f16_sdwa v1, v1, v3 dst_sel:DWORD dst_unused:UNUSED_PAD src0_sel:WORD_1 src1_sel:WORD_1
	v_fma_f16 v3, v7, v4, v5
	v_fma_f16 v9, v6, v4, v1
	v_fma_f16 v5, -v7, v4, v5
	v_fma_f16 v1, v6, v4, -v1
	v_fma_f16 v3, -v8, v6, v3
	v_fmac_f16_e32 v9, v7, v8
	v_fmac_f16_e32 v5, v8, v6
	;; [unrolled: 1-line block ×3, first 2 shown]
	v_pack_b32_f16 v3, v3, v9
	v_pack_b32_f16 v1, v5, v1
	ds_write_b32 v34, v3 offset:5200
	ds_write_b32 v2, v1 offset:6800
	ds_read_b32 v1, v34 offset:5600
	ds_read_b32 v3, v2 offset:6400
	s_waitcnt vmcnt(0)
	v_lshrrev_b32_e32 v4, 16, v0
	s_waitcnt lgkmcnt(0)
	v_add_f16_e32 v7, v1, v3
	v_add_f16_sdwa v5, v3, v1 dst_sel:DWORD dst_unused:UNUSED_PAD src0_sel:WORD_1 src1_sel:WORD_1
	v_sub_f16_e32 v6, v1, v3
	v_sub_f16_sdwa v8, v1, v3 dst_sel:DWORD dst_unused:UNUSED_PAD src0_sel:WORD_1 src1_sel:WORD_1
	v_fma_f16 v9, v6, v4, v7
	v_fma_f16 v1, v5, v4, v8
	v_fma_f16 v3, -v6, v4, v7
	v_fma_f16 v4, v5, v4, -v8
	v_mul_u32_u24_e32 v8, 10, v24
	v_fma_f16 v7, -v0, v5, v9
	v_fmac_f16_e32 v1, v6, v0
	v_fmac_f16_e32 v3, v0, v5
	;; [unrolled: 1-line block ×3, first 2 shown]
	v_lshl_add_u32 v8, v8, 2, 0
	v_pack_b32_f16 v0, v7, v1
	v_pack_b32_f16 v1, v3, v4
	ds_write_b32 v34, v0 offset:5600
	ds_write_b32 v2, v1 offset:6400
	s_waitcnt lgkmcnt(0)
	s_barrier
	buffer_gl0_inv
	s_barrier
	buffer_gl0_inv
	ds_read2_b32 v[6:7], v25 offset0:88 offset1:188
	ds_read2_b32 v[4:5], v35 offset0:48 offset1:148
	;; [unrolled: 1-line block ×4, first 2 shown]
	ds_read2_b32 v[14:15], v34 offset1:100
	ds_read2_b32 v[16:17], v38 offset0:72 offset1:172
	ds_read2_b32 v[18:19], v40 offset0:120 offset1:220
	;; [unrolled: 1-line block ×10, first 2 shown]
	s_waitcnt lgkmcnt(0)
	s_barrier
	buffer_gl0_inv
	v_lshrrev_b32_e32 v147, 16, v17
	v_add_f16_e32 v72, v19, v29
	v_pk_add_f16 v90, v16, v30
	v_pk_add_f16 v73, v17, v31
	v_sub_f16_e32 v56, v6, v4
	v_pk_add_f16 v120, v48, v50
	v_pk_add_f16 v121, v49, v51
	;; [unrolled: 1-line block ×4, first 2 shown]
	v_add_f16_e32 v9, v4, v2
	v_sub_f16_sdwa v63, v6, v0 dst_sel:DWORD dst_unused:UNUSED_PAD src0_sel:WORD_1 src1_sel:WORD_1
	v_sub_f16_sdwa v64, v4, v2 dst_sel:DWORD dst_unused:UNUSED_PAD src0_sel:WORD_1 src1_sel:WORD_1
	v_sub_f16_e32 v23, v0, v2
	v_add_f16_e32 v57, v6, v0
	v_sub_f16_e32 v59, v4, v6
	v_add_f16_sdwa v65, v4, v2 dst_sel:DWORD dst_unused:UNUSED_PAD src0_sel:WORD_1 src1_sel:WORD_1
	v_sub_f16_e32 v66, v6, v0
	v_sub_f16_e32 v67, v4, v2
	v_sub_f16_sdwa v68, v6, v4 dst_sel:DWORD dst_unused:UNUSED_PAD src0_sel:WORD_1 src1_sel:WORD_1
	v_add_f16_sdwa v70, v6, v0 dst_sel:DWORD dst_unused:UNUSED_PAD src0_sel:WORD_1 src1_sel:WORD_1
	v_sub_f16_sdwa v6, v4, v6 dst_sel:DWORD dst_unused:UNUSED_PAD src0_sel:WORD_1 src1_sel:WORD_1
	v_add_f16_e32 v74, v5, v3
	v_sub_f16_sdwa v76, v5, v3 dst_sel:DWORD dst_unused:UNUSED_PAD src0_sel:WORD_1 src1_sel:WORD_1
	v_sub_f16_e32 v78, v7, v5
	v_sub_f16_e32 v81, v5, v7
	v_add_f16_sdwa v83, v5, v3 dst_sel:DWORD dst_unused:UNUSED_PAD src0_sel:WORD_1 src1_sel:WORD_1
	v_sub_f16_e32 v84, v5, v3
	v_sub_f16_sdwa v85, v7, v5 dst_sel:DWORD dst_unused:UNUSED_PAD src0_sel:WORD_1 src1_sel:WORD_1
	v_sub_f16_sdwa v86, v5, v7 dst_sel:DWORD dst_unused:UNUSED_PAD src0_sel:WORD_1 src1_sel:WORD_1
	v_add_f16_e32 v98, v18, v28
	v_sub_f16_sdwa v99, v18, v28 dst_sel:DWORD dst_unused:UNUSED_PAD src0_sel:WORD_1 src1_sel:WORD_1
	v_sub_f16_e32 v100, v30, v18
	v_sub_f16_e32 v101, v18, v30
	v_add_f16_sdwa v102, v18, v28 dst_sel:DWORD dst_unused:UNUSED_PAD src0_sel:WORD_1 src1_sel:WORD_1
	v_sub_f16_e32 v103, v18, v28
	v_sub_f16_sdwa v104, v30, v18 dst_sel:DWORD dst_unused:UNUSED_PAD src0_sel:WORD_1 src1_sel:WORD_1
	v_sub_f16_sdwa v105, v18, v30 dst_sel:DWORD dst_unused:UNUSED_PAD src0_sel:WORD_1 src1_sel:WORD_1
	v_add_f16_e32 v107, v31, v33
	v_add_f16_e32 v110, v30, v32
	;; [unrolled: 1-line block ×3, first 2 shown]
	v_sub_f16_sdwa v123, v52, v54 dst_sel:DWORD dst_unused:UNUSED_PAD src0_sel:WORD_1 src1_sel:WORD_1
	v_sub_f16_e32 v124, v50, v52
	v_sub_f16_e32 v125, v52, v50
	v_add_f16_sdwa v126, v52, v54 dst_sel:DWORD dst_unused:UNUSED_PAD src0_sel:WORD_1 src1_sel:WORD_1
	v_sub_f16_e32 v127, v52, v54
	v_sub_f16_sdwa v128, v50, v52 dst_sel:DWORD dst_unused:UNUSED_PAD src0_sel:WORD_1 src1_sel:WORD_1
	v_sub_f16_sdwa v129, v52, v50 dst_sel:DWORD dst_unused:UNUSED_PAD src0_sel:WORD_1 src1_sel:WORD_1
	v_add_f16_e32 v130, v53, v55
	v_sub_f16_sdwa v131, v53, v55 dst_sel:DWORD dst_unused:UNUSED_PAD src0_sel:WORD_1 src1_sel:WORD_1
	v_sub_f16_e32 v132, v51, v53
	v_sub_f16_e32 v133, v53, v51
	v_add_f16_sdwa v134, v53, v55 dst_sel:DWORD dst_unused:UNUSED_PAD src0_sel:WORD_1 src1_sel:WORD_1
	v_sub_f16_e32 v135, v53, v55
	v_sub_f16_sdwa v136, v51, v53 dst_sel:DWORD dst_unused:UNUSED_PAD src0_sel:WORD_1 src1_sel:WORD_1
	v_sub_f16_sdwa v137, v53, v51 dst_sel:DWORD dst_unused:UNUSED_PAD src0_sel:WORD_1 src1_sel:WORD_1
	;; [unrolled: 1-line block ×3, first 2 shown]
	v_add_f16_e32 v139, v50, v61
	v_sub_f16_e32 v140, v50, v61
	v_pk_add_f16 v4, v60, v4
	v_pk_add_f16 v5, v82, v5
	v_add_f16_sdwa v60, v50, v61 dst_sel:DWORD dst_unused:UNUSED_PAD src0_sel:WORD_1 src1_sel:WORD_1
	v_pk_add_f16 v18, v90, v18
	v_add_f16_e32 v50, v51, v62
	v_pk_add_f16 v52, v120, v52
	v_pk_add_f16 v53, v121, v53
	v_sub_f16_sdwa v71, v2, v0 dst_sel:DWORD dst_unused:UNUSED_PAD src0_sel:WORD_1 src1_sel:WORD_1
	v_sub_f16_e32 v77, v1, v3
	v_add_f16_e32 v79, v7, v1
	v_sub_f16_e32 v80, v3, v1
	v_sub_f16_sdwa v88, v1, v3 dst_sel:DWORD dst_unused:UNUSED_PAD src0_sel:WORD_1 src1_sel:WORD_1
	v_sub_f16_sdwa v89, v3, v1 dst_sel:DWORD dst_unused:UNUSED_PAD src0_sel:WORD_1 src1_sel:WORD_1
	;; [unrolled: 1-line block ×3, first 2 shown]
	v_sub_f16_e32 v92, v31, v19
	v_sub_f16_e32 v93, v19, v31
	v_add_f16_sdwa v94, v19, v29 dst_sel:DWORD dst_unused:UNUSED_PAD src0_sel:WORD_1 src1_sel:WORD_1
	v_sub_f16_e32 v95, v19, v29
	v_sub_f16_sdwa v96, v31, v19 dst_sel:DWORD dst_unused:UNUSED_PAD src0_sel:WORD_1 src1_sel:WORD_1
	v_sub_f16_sdwa v97, v19, v31 dst_sel:DWORD dst_unused:UNUSED_PAD src0_sel:WORD_1 src1_sel:WORD_1
	;; [unrolled: 1-line block ×3, first 2 shown]
	v_sub_f16_e32 v108, v31, v33
	v_add_f16_sdwa v31, v31, v33 dst_sel:DWORD dst_unused:UNUSED_PAD src0_sel:WORD_1 src1_sel:WORD_1
	v_sub_f16_e32 v116, v32, v28
	v_sub_f16_e32 v117, v28, v32
	v_sub_f16_sdwa v118, v32, v28 dst_sel:DWORD dst_unused:UNUSED_PAD src0_sel:WORD_1 src1_sel:WORD_1
	v_sub_f16_sdwa v119, v28, v32 dst_sel:DWORD dst_unused:UNUSED_PAD src0_sel:WORD_1 src1_sel:WORD_1
	v_pk_add_f16 v19, v73, v19
	v_sub_f16_e32 v90, v61, v54
	v_sub_f16_e32 v120, v54, v61
	v_sub_f16_sdwa v121, v61, v54 dst_sel:DWORD dst_unused:UNUSED_PAD src0_sel:WORD_1 src1_sel:WORD_1
	v_pk_add_f16 v142, v5, v3
	v_sub_f16_sdwa v143, v54, v61 dst_sel:DWORD dst_unused:UNUSED_PAD src0_sel:WORD_1 src1_sel:WORD_1
	v_sub_f16_e32 v144, v62, v55
	v_pk_add_f16 v18, v18, v28
	v_sub_f16_e32 v28, v55, v62
	v_sub_f16_sdwa v145, v62, v55 dst_sel:DWORD dst_unused:UNUSED_PAD src0_sel:WORD_1 src1_sel:WORD_1
	v_pk_add_f16 v52, v52, v54
	v_pk_add_f16 v53, v53, v55
	v_sub_f16_sdwa v54, v55, v62 dst_sel:DWORD dst_unused:UNUSED_PAD src0_sel:WORD_1 src1_sel:WORD_1
	v_lshrrev_b32_e32 v55, 16, v14
	v_fma_f16 v9, -0.5, v9, v14
	v_fma_f16 v146, -0.5, v57, v14
	;; [unrolled: 1-line block ×9, first 2 shown]
	v_lshrrev_b32_e32 v122, 16, v49
	v_add_f16_e32 v130, v56, v23
	v_add_nc_u32_e32 v14, 0x258, v24
	v_mul_lo_u16 v23, 0xcd, v22
	v_and_b32_e32 v49, 0xff, v21
	v_sub_f16_e32 v58, v2, v0
	v_sub_f16_sdwa v69, v0, v2 dst_sel:DWORD dst_unused:UNUSED_PAD src0_sel:WORD_1 src1_sel:WORD_1
	v_sub_f16_sdwa v109, v30, v32 dst_sel:DWORD dst_unused:UNUSED_PAD src0_sel:WORD_1 src1_sel:WORD_1
	v_sub_f16_e32 v111, v30, v32
	v_add_f16_sdwa v30, v30, v32 dst_sel:DWORD dst_unused:UNUSED_PAD src0_sel:WORD_1 src1_sel:WORD_1
	v_sub_f16_e32 v112, v33, v29
	v_sub_f16_e32 v113, v29, v33
	v_sub_f16_sdwa v114, v33, v29 dst_sel:DWORD dst_unused:UNUSED_PAD src0_sel:WORD_1 src1_sel:WORD_1
	v_sub_f16_sdwa v115, v29, v33 dst_sel:DWORD dst_unused:UNUSED_PAD src0_sel:WORD_1 src1_sel:WORD_1
	v_pk_add_f16 v141, v4, v2
	v_pk_add_f16 v19, v19, v29
	v_fma_f16 v74, -0.5, v74, v15
	v_fma_f16 v79, -0.5, v79, v15
	v_lshrrev_b32_e32 v15, 16, v15
	v_lshrrev_b32_e32 v2, 16, v16
	;; [unrolled: 1-line block ×3, first 2 shown]
	v_fma_f16 v65, -0.5, v65, v55
	v_fmac_f16_e32 v55, -0.5, v70
	v_add_f16_e32 v6, v6, v71
	v_mul_u32_u24_sdwa v29, v20, v13 dst_sel:DWORD dst_unused:UNUSED_PAD src0_sel:WORD_0 src1_sel:DWORD
	v_fma_f16 v71, -0.5, v94, v147
	v_fmac_f16_e32 v147, -0.5, v31
	v_add_f16_e32 v77, v78, v77
	v_mul_u32_u24_sdwa v78, v14, v13 dst_sel:DWORD dst_unused:UNUSED_PAD src0_sel:WORD_0 src1_sel:DWORD
	v_lshrrev_b16 v50, 11, v23
	v_mul_lo_u16 v23, 0xcd, v49
	v_pk_add_f16 v18, v18, v32
	v_fmamk_f16 v32, v64, 0xbb9c, v146
	v_fmac_f16_e32 v146, 0x3b9c, v64
	v_pk_add_f16 v52, v52, v61
	v_fmamk_f16 v61, v91, 0xbb9c, v17
	v_fmac_f16_e32 v17, 0x3b9c, v91
	v_sub_f16_sdwa v75, v7, v1 dst_sel:DWORD dst_unused:UNUSED_PAD src0_sel:WORD_1 src1_sel:WORD_1
	v_sub_f16_e32 v87, v7, v1
	v_add_f16_sdwa v7, v7, v1 dst_sel:DWORD dst_unused:UNUSED_PAD src0_sel:WORD_1 src1_sel:WORD_1
	v_sub_f16_sdwa v82, v51, v62 dst_sel:DWORD dst_unused:UNUSED_PAD src0_sel:WORD_1 src1_sel:WORD_1
	v_sub_f16_e32 v73, v51, v62
	v_add_f16_sdwa v51, v51, v62 dst_sel:DWORD dst_unused:UNUSED_PAD src0_sel:WORD_1 src1_sel:WORD_1
	v_add_f16_e32 v70, v93, v113
	v_add_f16_e32 v93, v97, v115
	v_fma_f16 v83, -0.5, v83, v15
	v_add_f16_e32 v115, v128, v121
	v_fma_f16 v121, -0.5, v126, v16
	v_fmac_f16_e32 v16, -0.5, v60
	v_lshrrev_b32_e32 v56, 19, v29
	v_lshrrev_b32_e32 v60, 19, v78
	v_lshrrev_b16 v29, 11, v23
	v_fma_f16 v78, -0.5, v102, v2
	v_add_f16_e32 v102, v105, v119
	v_add_f16_e32 v105, v132, v144
	;; [unrolled: 1-line block ×3, first 2 shown]
	v_fmamk_f16 v132, v106, 0x3b9c, v72
	v_fmamk_f16 v133, v63, 0x3b9c, v9
	v_pk_add_f16 v19, v19, v33
	v_fmamk_f16 v33, v67, 0x3b9c, v55
	v_fmac_f16_e32 v55, 0xbb9c, v67
	v_fmac_f16_e32 v9, 0xbb9c, v63
	v_pk_add_f16 v53, v53, v62
	v_fmamk_f16 v62, v95, 0x3b9c, v147
	v_fmac_f16_e32 v147, 0xbb9c, v95
	v_fmac_f16_e32 v72, 0xbb9c, v106
	;; [unrolled: 1-line block ×4, first 2 shown]
	v_fmamk_f16 v63, v108, 0xbb9c, v71
	v_fmac_f16_e32 v71, 0x3b9c, v108
	v_fmac_f16_e32 v61, 0x38b4, v106
	;; [unrolled: 1-line block ×3, first 2 shown]
	v_fmamk_f16 v106, v76, 0xbb9c, v79
	v_fmac_f16_e32 v79, 0x3b9c, v76
	v_fma_f16 v48, -0.5, v139, v48
	v_fmac_f16_e32 v15, -0.5, v7
	v_add_f16_e32 v97, v125, v120
	v_add_f16_e32 v125, v129, v143
	v_mul_lo_u16 v23, v50, 10
	v_mul_lo_u16 v119, v29, 10
	v_fma_f16 v129, -0.5, v134, v122
	v_fmac_f16_e32 v122, -0.5, v51
	v_fmamk_f16 v134, v66, 0xbb9c, v65
	v_fmac_f16_e32 v65, 0x3b9c, v66
	v_fmac_f16_e32 v33, 0xb8b4, v66
	v_fmac_f16_e32 v55, 0x38b4, v66
	v_fmamk_f16 v66, v75, 0x3b9c, v74
	v_fmac_f16_e32 v74, 0xbb9c, v75
	v_fmac_f16_e32 v62, 0xb8b4, v108
	v_fmac_f16_e32 v147, 0x38b4, v108
	;; [unrolled: 4-line block ×4, first 2 shown]
	v_fmamk_f16 v75, v109, 0x3b9c, v3
	v_fmac_f16_e32 v3, 0xbb9c, v109
	v_add_f16_e32 v92, v92, v112
	v_fmac_f16_e32 v2, -0.5, v30
	v_sub_nc_u16 v30, v24, v23
	v_sub_nc_u16 v23, v21, v119
	v_add_f16_e32 v119, v136, v145
	v_add_f16_e32 v54, v137, v54
	v_fmac_f16_e32 v132, 0x38b4, v91
	v_fmac_f16_e32 v72, 0xb8b4, v91
	v_fmamk_f16 v91, v84, 0x3b9c, v15
	v_fmac_f16_e32 v15, 0xbb9c, v84
	v_fmac_f16_e32 v133, 0x38b4, v64
	v_fmac_f16_e32 v9, 0xb8b4, v64
	v_fmamk_f16 v64, v138, 0x3b9c, v98
	v_fmac_f16_e32 v98, 0xbb9c, v138
	;; [unrolled: 4-line block ×5, first 2 shown]
	v_fmamk_f16 v136, v82, 0x3b9c, v107
	v_fmac_f16_e32 v107, 0xbb9c, v82
	v_fmac_f16_e32 v95, 0xb8b4, v127
	;; [unrolled: 1-line block ×3, first 2 shown]
	v_fmamk_f16 v127, v131, 0xbb9c, v110
	v_fmac_f16_e32 v110, 0x3b9c, v131
	v_fmamk_f16 v137, v73, 0xbb9c, v129
	v_fmac_f16_e32 v129, 0x3b9c, v73
	v_fmac_f16_e32 v75, 0x38b4, v99
	;; [unrolled: 1-line block ×3, first 2 shown]
	v_fmamk_f16 v99, v135, 0x3b9c, v122
	v_fmac_f16_e32 v122, 0xbb9c, v135
	v_add_f16_e32 v96, v96, v114
	v_add_f16_e32 v90, v124, v90
	v_pk_add_f16 v0, v141, v0
	v_pk_add_f16 v1, v142, v1
	v_fmac_f16_e32 v91, 0xb8b4, v87
	v_fmac_f16_e32 v15, 0x38b4, v87
	v_fmamk_f16 v87, v111, 0xbb9c, v78
	v_fmac_f16_e32 v78, 0x3b9c, v111
	v_fmac_f16_e32 v64, 0x38b4, v123
	;; [unrolled: 1-line block ×3, first 2 shown]
	v_fmamk_f16 v123, v103, 0x3b9c, v2
	v_fmac_f16_e32 v2, 0xbb9c, v103
	v_fmac_f16_e32 v67, 0x38b4, v138
	;; [unrolled: 1-line block ×13, first 2 shown]
	v_add_f16_e32 v68, v68, v69
	v_fmac_f16_e32 v61, 0x34f2, v70
	v_fmac_f16_e32 v17, 0x34f2, v70
	;; [unrolled: 1-line block ×4, first 2 shown]
	v_add_f16_e32 v80, v81, v80
	v_fmac_f16_e32 v72, 0x34f2, v92
	v_fmac_f16_e32 v71, 0x34f2, v96
	v_add_f16_e32 v85, v85, v88
	v_add_f16_e32 v86, v86, v89
	;; [unrolled: 1-line block ×5, first 2 shown]
	v_fmac_f16_e32 v84, 0x38b4, v109
	v_fmac_f16_e32 v5, 0xb8b4, v109
	;; [unrolled: 1-line block ×10, first 2 shown]
	v_pk_add_f16 v6, v0, v19
	v_pk_add_f16 v0, v0, v19 neg_lo:[0,1] neg_hi:[0,1]
	v_fmac_f16_e32 v64, 0x34f2, v90
	v_fmac_f16_e32 v98, 0x34f2, v90
	;; [unrolled: 1-line block ×7, first 2 shown]
	v_pk_add_f16 v19, v1, v52
	v_pk_add_f16 v1, v1, v52 neg_lo:[0,1] neg_hi:[0,1]
	v_fmac_f16_e32 v136, 0x34f2, v105
	v_fmac_f16_e32 v107, 0x34f2, v105
	;; [unrolled: 1-line block ×7, first 2 shown]
	v_pk_add_f16 v28, v18, v53
	v_pk_add_f16 v18, v18, v53 neg_lo:[0,1] neg_hi:[0,1]
	v_mul_f16_e32 v52, 0x3a79, v132
	v_mul_f16_e32 v53, 0xb8b4, v132
	v_add_f16_e32 v139, v59, v58
	v_fmac_f16_e32 v134, 0x34f2, v68
	v_fmac_f16_e32 v65, 0x34f2, v68
	v_mul_f16_e32 v54, 0x34f2, v17
	v_mul_f16_e32 v68, 0x34f2, v147
	;; [unrolled: 1-line block ×4, first 2 shown]
	v_fmac_f16_e32 v66, 0x34f2, v77
	v_fmac_f16_e32 v74, 0x34f2, v77
	v_fmac_f16_e32 v106, 0x34f2, v80
	v_fmac_f16_e32 v79, 0x34f2, v80
	v_mul_f16_e32 v77, 0x3a79, v72
	v_mul_f16_e32 v80, 0x3a79, v71
	v_fmac_f16_e32 v133, 0x34f2, v130
	v_fmac_f16_e32 v108, 0x34f2, v85
	;; [unrolled: 1-line block ×15, first 2 shown]
	v_mul_f16_e32 v82, 0x3a79, v64
	v_mul_f16_e32 v64, 0xb8b4, v64
	;; [unrolled: 1-line block ×16, first 2 shown]
	v_fmac_f16_e32 v52, 0x38b4, v63
	v_fmac_f16_e32 v53, 0x3a79, v63
	;; [unrolled: 1-line block ×4, first 2 shown]
	v_fma_f16 v54, v147, 0x3b9c, -v54
	v_fma_f16 v17, v17, 0xbb9c, -v68
	v_fmac_f16_e32 v70, 0x34f2, v61
	v_fmac_f16_e32 v73, 0x34f2, v62
	;; [unrolled: 1-line block ×3, first 2 shown]
	v_fma_f16 v61, v71, 0x38b4, -v77
	v_fma_f16 v62, v72, 0xb8b4, -v80
	v_mul_u32_u24_sdwa v57, v10, v13 dst_sel:DWORD dst_unused:UNUSED_PAD src0_sel:WORD_0 src1_sel:DWORD
	v_mul_u32_u24_sdwa v31, v11, v13 dst_sel:DWORD dst_unused:UNUSED_PAD src0_sel:WORD_0 src1_sel:DWORD
	v_fmac_f16_e32 v82, 0x38b4, v95
	v_fmac_f16_e32 v64, 0x3a79, v95
	;; [unrolled: 1-line block ×3, first 2 shown]
	v_fma_f16 v16, v16, 0x3b9c, -v86
	v_fma_f16 v63, v121, 0x38b4, -v90
	v_fmac_f16_e32 v92, 0x34f2, v76
	v_fma_f16 v48, v48, 0xbb9c, -v93
	v_fma_f16 v67, v98, 0xb8b4, -v96
	v_fmac_f16_e32 v97, 0x38b4, v137
	v_fmac_f16_e32 v100, 0x3a79, v137
	;; [unrolled: 1-line block ×3, first 2 shown]
	v_fma_f16 v68, v122, 0x3b9c, -v102
	v_fma_f16 v71, v129, 0x38b4, -v103
	v_fmac_f16_e32 v104, 0x34f2, v99
	v_fma_f16 v72, v110, 0xbb9c, -v105
	v_fma_f16 v76, v107, 0xb8b4, -v109
	v_add_f16_e32 v77, v133, v52
	v_add_f16_e32 v80, v134, v53
	;; [unrolled: 1-line block ×8, first 2 shown]
	v_sub_f16_e32 v52, v133, v52
	v_sub_f16_e32 v32, v32, v70
	;; [unrolled: 1-line block ×8, first 2 shown]
	v_add_nc_u32_e32 v4, 0x1f4, v24
	v_add_nc_u32_e32 v69, 0x2bc, v24
	v_lshrrev_b32_e32 v57, 19, v57
	v_lshrrev_b32_e32 v58, 19, v31
	v_add_f16_e32 v61, v66, v82
	v_sub_f16_e32 v62, v66, v82
	v_add_f16_e32 v65, v106, v85
	v_sub_f16_e32 v66, v106, v85
	;; [unrolled: 2-line block ×16, first 2 shown]
	v_pack_b32_f16 v77, v77, v80
	v_pack_b32_f16 v78, v86, v90
	v_pack_b32_f16 v80, v93, v95
	v_pack_b32_f16 v86, v96, v98
	v_pack_b32_f16 v52, v52, v53
	v_pack_b32_f16 v32, v32, v33
	v_pack_b32_f16 v9, v9, v55
	v_pack_b32_f16 v17, v54, v17
	v_add_nc_u32_e32 v112, 0x320, v24
	v_add_nc_u32_e32 v114, 0x384, v24
	v_mul_u32_u24_sdwa v59, v4, v13 dst_sel:DWORD dst_unused:UNUSED_PAD src0_sel:WORD_0 src1_sel:DWORD
	v_mul_u32_u24_sdwa v81, v69, v13 dst_sel:DWORD dst_unused:UNUSED_PAD src0_sel:WORD_0 src1_sel:DWORD
	v_add_nc_u32_e32 v88, 0xfa0, v8
	v_add_nc_u32_e32 v7, 0xfa8, v8
	;; [unrolled: 1-line block ×10, first 2 shown]
	v_mul_lo_u16 v126, v57, 10
	v_pack_b32_f16 v33, v61, v74
	v_pack_b32_f16 v53, v70, v85
	;; [unrolled: 1-line block ×16, first 2 shown]
	ds_write2_b32 v8, v6, v77 offset1:1
	ds_write2_b32 v8, v80, v78 offset0:2 offset1:3
	ds_write2_b32 v8, v86, v0 offset0:4 offset1:5
	;; [unrolled: 1-line block ×4, first 2 shown]
	ds_write2_b32 v88, v19, v33 offset1:1
	ds_write2_b32 v7, v54, v53 offset1:1
	;; [unrolled: 1-line block ×10, first 2 shown]
	v_mul_lo_u16 v0, v58, 10
	v_lshrrev_b32_e32 v59, 19, v59
	v_sub_nc_u16 v32, v10, v126
	v_mul_u32_u24_sdwa v10, v112, v13 dst_sel:DWORD dst_unused:UNUSED_PAD src0_sel:WORD_0 src1_sel:DWORD
	v_lshrrev_b32_e32 v61, 19, v81
	v_sub_nc_u16 v33, v11, v0
	v_mul_lo_u16 v11, v60, 10
	v_mul_u32_u24_sdwa v13, v114, v13 dst_sel:DWORD dst_unused:UNUSED_PAD src0_sel:WORD_0 src1_sel:DWORD
	v_mul_lo_u16 v31, v56, 10
	v_lshlrev_b32_sdwa v51, v12, v23 dst_sel:DWORD dst_unused:UNUSED_PAD src0_sel:DWORD src1_sel:BYTE_0
	v_mul_lo_u16 v5, v59, 10
	v_lshrrev_b32_e32 v62, 19, v10
	v_sub_nc_u16 v52, v14, v11
	v_mul_lo_u16 v14, v61, 10
	v_lshrrev_b32_e32 v63, 19, v13
	v_sub_nc_u16 v31, v20, v31
	s_waitcnt lgkmcnt(0)
	s_barrier
	buffer_gl0_inv
	global_load_dwordx2 v[6:7], v51, s[8:9]
	v_sub_nc_u16 v51, v4, v5
	v_sub_nc_u16 v53, v69, v14
	v_mul_lo_u16 v16, v62, 10
	v_mul_lo_u16 v18, v63, 10
	v_lshlrev_b32_sdwa v128, v12, v30 dst_sel:DWORD dst_unused:UNUSED_PAD src0_sel:DWORD src1_sel:BYTE_0
	v_lshlrev_b32_sdwa v1, v12, v31 dst_sel:DWORD dst_unused:UNUSED_PAD src0_sel:DWORD src1_sel:WORD_0
	v_lshlrev_b32_sdwa v15, v12, v51 dst_sel:DWORD dst_unused:UNUSED_PAD src0_sel:DWORD src1_sel:WORD_0
	v_lshlrev_b32_sdwa v13, v12, v53 dst_sel:DWORD dst_unused:UNUSED_PAD src0_sel:DWORD src1_sel:WORD_0
	v_sub_nc_u16 v54, v112, v16
	v_sub_nc_u16 v55, v114, v18
	global_load_dwordx2 v[8:9], v128, s[8:9]
	v_lshlrev_b32_sdwa v0, v12, v32 dst_sel:DWORD dst_unused:UNUSED_PAD src0_sel:DWORD src1_sel:WORD_0
	global_load_dwordx2 v[2:3], v1, s[8:9]
	v_lshlrev_b32_sdwa v4, v12, v33 dst_sel:DWORD dst_unused:UNUSED_PAD src0_sel:DWORD src1_sel:WORD_0
	s_clause 0x1
	global_load_dwordx2 v[10:11], v15, s[8:9]
	global_load_dwordx2 v[16:17], v13, s[8:9]
	v_lshlrev_b32_sdwa v15, v12, v52 dst_sel:DWORD dst_unused:UNUSED_PAD src0_sel:DWORD src1_sel:WORD_0
	v_lshlrev_b32_sdwa v13, v12, v54 dst_sel:DWORD dst_unused:UNUSED_PAD src0_sel:DWORD src1_sel:WORD_0
	;; [unrolled: 1-line block ×3, first 2 shown]
	global_load_dwordx2 v[4:5], v4, s[8:9]
	v_mov_b32_e32 v28, 0x8889
	s_clause 0x3
	global_load_dwordx2 v[14:15], v15, s[8:9]
	global_load_dwordx2 v[18:19], v13, s[8:9]
	;; [unrolled: 1-line block ×4, first 2 shown]
	v_mul_lo_u16 v64, 0x89, v22
	v_mov_b32_e32 v65, 0x78
	v_mul_u32_u24_sdwa v66, v20, v28 dst_sel:DWORD dst_unused:UNUSED_PAD src0_sel:WORD_0 src1_sel:DWORD
	v_mov_b32_e32 v48, 2
	v_mul_u32_u24_e32 v56, 0x78, v56
	v_lshrrev_b16 v28, 12, v64
	v_mul_lo_u16 v64, 0x89, v49
	v_lshrrev_b32_e32 v49, 20, v66
	v_mul_u32_u24_sdwa v66, v50, v65 dst_sel:DWORD dst_unused:UNUSED_PAD src0_sel:WORD_0 src1_sel:DWORD
	v_mul_u32_u24_e32 v57, 0x78, v57
	v_mul_u32_u24_e32 v58, 0x78, v58
	v_lshrrev_b16 v50, 12, v64
	v_mul_lo_u16 v67, v28, 30
	v_mul_u32_u24_sdwa v64, v29, v65 dst_sel:DWORD dst_unused:UNUSED_PAD src0_sel:WORD_0 src1_sel:DWORD
	v_lshlrev_b32_sdwa v30, v48, v30 dst_sel:DWORD dst_unused:UNUSED_PAD src0_sel:DWORD src1_sel:BYTE_0
	v_lshlrev_b32_sdwa v31, v48, v31 dst_sel:DWORD dst_unused:UNUSED_PAD src0_sel:DWORD src1_sel:WORD_0
	v_mul_lo_u16 v65, v50, 30
	v_lshlrev_b32_sdwa v32, v48, v32 dst_sel:DWORD dst_unused:UNUSED_PAD src0_sel:DWORD src1_sel:WORD_0
	v_lshlrev_b32_sdwa v33, v48, v33 dst_sel:DWORD dst_unused:UNUSED_PAD src0_sel:DWORD src1_sel:WORD_0
	v_mov_b32_e32 v22, 9
	v_sub_nc_u16 v29, v24, v67
	v_lshlrev_b32_sdwa v67, v48, v51 dst_sel:DWORD dst_unused:UNUSED_PAD src0_sel:DWORD src1_sel:WORD_0
	v_sub_nc_u16 v51, v21, v65
	v_add3_u32 v21, 0, v66, v30
	v_add3_u32 v79, 0, v56, v31
	v_add3_u32 v80, 0, v57, v32
	v_add3_u32 v81, 0, v58, v33
	ds_read2_b32 v[30:31], v39 offset0:80 offset1:180
	ds_read2_b32 v[32:33], v44 offset0:104 offset1:204
	v_mul_u32_u24_e32 v59, 0x78, v59
	v_mul_u32_u24_e32 v60, 0x78, v60
	;; [unrolled: 1-line block ×5, first 2 shown]
	v_lshlrev_b32_sdwa v52, v48, v52 dst_sel:DWORD dst_unused:UNUSED_PAD src0_sel:DWORD src1_sel:WORD_0
	v_lshlrev_b32_sdwa v53, v48, v53 dst_sel:DWORD dst_unused:UNUSED_PAD src0_sel:DWORD src1_sel:WORD_0
	v_lshlrev_b32_sdwa v54, v48, v54 dst_sel:DWORD dst_unused:UNUSED_PAD src0_sel:DWORD src1_sel:WORD_0
	v_lshlrev_b32_sdwa v55, v48, v55 dst_sel:DWORD dst_unused:UNUSED_PAD src0_sel:DWORD src1_sel:WORD_0
	v_mul_u32_u24_sdwa v68, v29, v22 dst_sel:DWORD dst_unused:UNUSED_PAD src0_sel:BYTE_0 src1_sel:DWORD
	v_lshlrev_b32_sdwa v23, v48, v23 dst_sel:DWORD dst_unused:UNUSED_PAD src0_sel:DWORD src1_sel:BYTE_0
	v_add3_u32 v82, 0, v59, v67
	v_add3_u32 v83, 0, v60, v52
	;; [unrolled: 1-line block ×5, first 2 shown]
	v_lshlrev_b32_e32 v87, 2, v68
	v_add3_u32 v23, 0, v64, v23
	ds_read2_b32 v[52:53], v35 offset0:48 offset1:148
	ds_read2_b32 v[54:55], v46 offset0:152 offset1:252
	ds_read_u16 v89, v34 offset:4002
	ds_read2_b32 v[56:57], v40 offset0:120 offset1:220
	ds_read2_b32 v[58:59], v37 offset0:96 offset1:196
	;; [unrolled: 1-line block ×6, first 2 shown]
	ds_read2_b32 v[68:69], v34 offset1:100
	ds_read2_b32 v[70:71], v38 offset0:72 offset1:172
	ds_read2_b32 v[72:73], v45 offset0:144 offset1:244
	;; [unrolled: 1-line block ×4, first 2 shown]
	s_waitcnt lgkmcnt(15)
	v_lshrrev_b32_e32 v90, 16, v30
	s_waitcnt lgkmcnt(14)
	v_lshrrev_b32_e32 v91, 16, v33
	v_lshrrev_b32_e32 v92, 16, v31
	v_mul_lo_u16 v78, v49, 30
	v_mul_u32_u24_sdwa v88, v51, v22 dst_sel:DWORD dst_unused:UNUSED_PAD src0_sel:BYTE_0 src1_sel:DWORD
	s_waitcnt vmcnt(0) lgkmcnt(0)
	v_lshrrev_b32_e32 v93, 16, v52
	v_lshrrev_b32_e32 v94, 16, v54
	;; [unrolled: 1-line block ×26, first 2 shown]
	s_barrier
	buffer_gl0_inv
	v_lshlrev_b32_sdwa v29, v48, v29 dst_sel:DWORD dst_unused:UNUSED_PAD src0_sel:DWORD src1_sel:BYTE_0
	v_mul_f16_sdwa v123, v91, v6 dst_sel:DWORD dst_unused:UNUSED_PAD src0_sel:DWORD src1_sel:WORD_1
	v_mul_f16_sdwa v124, v92, v7 dst_sel:DWORD dst_unused:UNUSED_PAD src0_sel:DWORD src1_sel:WORD_1
	;; [unrolled: 1-line block ×4, first 2 shown]
	v_fma_f16 v33, v33, v6, -v123
	v_fma_f16 v31, v31, v7, -v124
	v_fmac_f16_e32 v125, v91, v6
	v_fmac_f16_e32 v126, v92, v7
	v_mul_f16_sdwa v119, v8, v32 dst_sel:DWORD dst_unused:UNUSED_PAD src0_sel:WORD_1 src1_sel:DWORD
	v_mul_f16_sdwa v120, v30, v9 dst_sel:DWORD dst_unused:UNUSED_PAD src0_sel:DWORD src1_sel:WORD_1
	v_mul_f16_sdwa v121, v89, v8 dst_sel:DWORD dst_unused:UNUSED_PAD src0_sel:DWORD src1_sel:WORD_1
	;; [unrolled: 1-line block ×17, first 2 shown]
	v_fmac_f16_e32 v119, v89, v8
	v_mul_f16_sdwa v89, v100, v11 dst_sel:DWORD dst_unused:UNUSED_PAD src0_sel:DWORD src1_sel:WORD_1
	v_fmac_f16_e32 v120, v90, v9
	v_mul_f16_sdwa v90, v59, v11 dst_sel:DWORD dst_unused:UNUSED_PAD src0_sel:DWORD src1_sel:WORD_1
	v_fma_f16 v8, v8, v32, -v121
	v_fma_f16 v9, v30, v9, -v122
	v_mul_f16_sdwa v121, v62, v15 dst_sel:DWORD dst_unused:UNUSED_PAD src0_sel:DWORD src1_sel:WORD_1
	v_mul_f16_sdwa v122, v102, v15 dst_sel:DWORD dst_unused:UNUSED_PAD src0_sel:DWORD src1_sel:WORD_1
	v_mul_f16_sdwa v124, v61, v16 dst_sel:DWORD dst_unused:UNUSED_PAD src0_sel:DWORD src1_sel:WORD_1
	v_mul_f16_sdwa v6, v104, v17 dst_sel:DWORD dst_unused:UNUSED_PAD src0_sel:DWORD src1_sel:WORD_1
	v_mul_f16_sdwa v7, v63, v17 dst_sel:DWORD dst_unused:UNUSED_PAD src0_sel:DWORD src1_sel:WORD_1
	v_mul_f16_sdwa v91, v64, v18 dst_sel:DWORD dst_unused:UNUSED_PAD src0_sel:DWORD src1_sel:WORD_1
	v_mul_f16_sdwa v92, v105, v18 dst_sel:DWORD dst_unused:UNUSED_PAD src0_sel:DWORD src1_sel:WORD_1
	v_fmac_f16_e32 v127, v93, v2
	v_fmac_f16_e32 v128, v94, v3
	v_fma_f16 v2, v52, v2, -v129
	v_fma_f16 v3, v54, v3, -v130
	v_mul_f16_sdwa v52, v107, v12 dst_sel:DWORD dst_unused:UNUSED_PAD src0_sel:DWORD src1_sel:WORD_1
	v_mul_f16_sdwa v54, v65, v12 dst_sel:DWORD dst_unused:UNUSED_PAD src0_sel:DWORD src1_sel:WORD_1
	;; [unrolled: 1-line block ×9, first 2 shown]
	v_fma_f16 v53, v53, v0, -v131
	v_fma_f16 v55, v55, v1, -v133
	v_fmac_f16_e32 v132, v95, v0
	v_fmac_f16_e32 v134, v96, v1
	;; [unrolled: 1-line block ×4, first 2 shown]
	v_fma_f16 v0, v56, v4, -v136
	v_fma_f16 v1, v58, v5, -v138
	;; [unrolled: 1-line block ×4, first 2 shown]
	v_fmac_f16_e32 v140, v99, v10
	v_fmac_f16_e32 v90, v100, v11
	v_fmac_f16_e32 v121, v102, v15
	v_fma_f16 v11, v62, v15, -v122
	v_fma_f16 v6, v63, v17, -v6
	v_fmac_f16_e32 v124, v103, v16
	v_fmac_f16_e32 v7, v104, v17
	;; [unrolled: 1-line block ×3, first 2 shown]
	v_fma_f16 v15, v64, v18, -v92
	v_fma_f16 v17, v65, v12, -v52
	;; [unrolled: 1-line block ×3, first 2 shown]
	v_fmac_f16_e32 v54, v107, v12
	v_fmac_f16_e32 v130, v108, v13
	;; [unrolled: 1-line block ×3, first 2 shown]
	v_fma_f16 v10, v60, v14, -v32
	v_fma_f16 v14, v61, v16, -v123
	v_fmac_f16_e32 v93, v106, v19
	v_fma_f16 v16, v66, v19, -v94
	v_add_f16_e32 v12, v33, v31
	v_add_f16_e32 v19, v125, v126
	;; [unrolled: 1-line block ×8, first 2 shown]
	v_sub_f16_e32 v52, v125, v126
	v_add_f16_e32 v61, v53, v55
	v_add_f16_e32 v63, v132, v134
	;; [unrolled: 1-line block ×9, first 2 shown]
	v_sub_f16_e32 v33, v33, v31
	v_sub_f16_e32 v8, v8, v9
	;; [unrolled: 1-line block ×3, first 2 shown]
	v_add_f16_e32 v64, v111, v132
	v_sub_f16_e32 v65, v132, v134
	v_add_f16_e32 v97, v0, v1
	v_add_f16_e32 v99, v14, v6
	;; [unrolled: 1-line block ×6, first 2 shown]
	v_sub_f16_e32 v132, v135, v137
	v_add_f16_e32 v135, v30, v121
	v_add_f16_e32 v138, v91, v93
	v_fmac_f16_e32 v69, -0.5, v12
	v_fmac_f16_e32 v109, -0.5, v19
	v_add_f16_e32 v9, v57, v9
	v_add_f16_e32 v12, v58, v120
	v_fmac_f16_e32 v110, -0.5, v59
	v_fma_f16 v56, -0.5, v56, v68
	v_add_f16_e32 v67, v70, v2
	v_add_f16_e32 v102, v115, v124
	v_sub_f16_e32 v103, v124, v7
	v_add_f16_e32 v124, v112, v127
	v_add_f16_e32 v62, v71, v53
	;; [unrolled: 1-line block ×7, first 2 shown]
	v_sub_f16_e32 v53, v53, v55
	v_add_f16_e32 v92, v73, v4
	v_add_f16_e32 v95, v113, v140
	v_sub_f16_e32 v96, v140, v90
	v_sub_f16_e32 v4, v4, v5
	;; [unrolled: 1-line block ×7, first 2 shown]
	v_add_f16_e32 v13, v13, v31
	v_add_f16_e32 v19, v32, v126
	v_fmac_f16_e32 v71, -0.5, v61
	v_fmac_f16_e32 v111, -0.5, v63
	;; [unrolled: 1-line block ×8, first 2 shown]
	v_fma_f16 v57, -0.5, v66, v70
	v_add_f16_e32 v98, v72, v0
	v_add_f16_e32 v105, v74, v10
	v_sub_f16_e32 v0, v0, v1
	v_sub_f16_e32 v10, v10, v11
	v_add_f16_e32 v133, v116, v30
	v_sub_f16_e32 v30, v30, v121
	v_sub_f16_e32 v15, v15, v16
	;; [unrolled: 1-line block ×3, first 2 shown]
	v_fmac_f16_e32 v75, -0.5, v99
	v_fma_f16 v58, -0.5, v97, v72
	v_fma_f16 v59, -0.5, v104, v74
	v_fma_f16 v61, -0.5, v122, v76
	v_fmac_f16_e32 v114, -0.5, v131
	v_fmac_f16_e32 v116, -0.5, v135
	;; [unrolled: 1-line block ×3, first 2 shown]
	v_fmamk_f16 v68, v52, 0x3aee, v69
	v_fmac_f16_e32 v69, 0xbaee, v52
	v_fmamk_f16 v52, v33, 0xbaee, v109
	v_fmac_f16_e32 v109, 0x3aee, v33
	v_pack_b32_f16 v9, v9, v12
	v_fmamk_f16 v12, v60, 0x3aee, v56
	v_fmamk_f16 v33, v8, 0xbaee, v110
	v_add_f16_e32 v3, v67, v3
	v_add_f16_e32 v31, v124, v128
	v_fmac_f16_e32 v56, 0xbaee, v60
	v_fmac_f16_e32 v110, 0x3aee, v8
	v_add_f16_e32 v32, v62, v55
	v_add_f16_e32 v55, v64, v134
	;; [unrolled: 1-line block ×8, first 2 shown]
	v_pack_b32_f16 v8, v13, v19
	v_fmamk_f16 v13, v65, 0x3aee, v71
	v_fmac_f16_e32 v71, 0xbaee, v65
	v_fmamk_f16 v19, v53, 0xbaee, v111
	v_fmac_f16_e32 v111, 0x3aee, v53
	v_fmamk_f16 v53, v96, 0x3aee, v73
	v_fmac_f16_e32 v73, 0xbaee, v96
	v_fmamk_f16 v60, v4, 0xbaee, v113
	v_fmac_f16_e32 v113, 0x3aee, v4
	v_fmamk_f16 v65, v14, 0xbaee, v115
	v_fmac_f16_e32 v115, 0x3aee, v14
	v_fmamk_f16 v14, v54, 0x3aee, v77
	v_fmac_f16_e32 v77, 0xbaee, v54
	v_fmamk_f16 v54, v17, 0xbaee, v117
	v_fmac_f16_e32 v117, 0x3aee, v17
	v_fmamk_f16 v17, v127, 0x3aee, v57
	v_fmamk_f16 v70, v2, 0xbaee, v112
	v_add_f16_e32 v1, v98, v1
	v_add_f16_e32 v62, v129, v137
	;; [unrolled: 1-line block ×6, first 2 shown]
	v_fmamk_f16 v4, v103, 0x3aee, v75
	v_fmac_f16_e32 v75, 0xbaee, v103
	v_fmac_f16_e32 v57, 0xbaee, v127
	v_fmac_f16_e32 v112, 0x3aee, v2
	v_fmamk_f16 v2, v132, 0x3aee, v58
	v_fmac_f16_e32 v58, 0xbaee, v132
	v_fmamk_f16 v72, v0, 0xbaee, v114
	v_fmac_f16_e32 v114, 0x3aee, v0
	v_fmamk_f16 v0, v30, 0x3aee, v59
	v_fmac_f16_e32 v59, 0xbaee, v30
	v_fmamk_f16 v30, v10, 0xbaee, v116
	v_fmac_f16_e32 v116, 0x3aee, v10
	v_fmamk_f16 v10, v91, 0x3aee, v61
	v_fmac_f16_e32 v61, 0xbaee, v91
	v_fmamk_f16 v74, v15, 0xbaee, v118
	v_fmac_f16_e32 v118, 0x3aee, v15
	v_pack_b32_f16 v12, v12, v33
	v_pack_b32_f16 v3, v3, v31
	;; [unrolled: 1-line block ×28, first 2 shown]
	ds_write2_b32 v21, v9, v12 offset1:10
	ds_write_b32 v21, v31 offset:80
	ds_write2_b32 v23, v8, v32 offset1:10
	ds_write_b32 v23, v18 offset:80
	;; [unrolled: 2-line block ×10, first 2 shown]
	v_sub_nc_u16 v52, v20, v78
	v_lshlrev_b32_e32 v31, 2, v88
	s_waitcnt lgkmcnt(0)
	s_barrier
	buffer_gl0_inv
	v_mul_u32_u24_sdwa v0, v52, v22 dst_sel:DWORD dst_unused:UNUSED_PAD src0_sel:WORD_0 src1_sel:DWORD
	s_clause 0x1
	global_load_dwordx4 v[12:15], v87, s[8:9] offset:80
	global_load_dwordx4 v[8:11], v31, s[8:9] offset:80
	v_mov_b32_e32 v55, 0x4b0
	v_lshlrev_b32_e32 v30, 2, v0
	s_clause 0x6
	global_load_dwordx4 v[4:7], v30, s[8:9] offset:80
	global_load_dwordx4 v[0:3], v87, s[8:9] offset:96
	;; [unrolled: 1-line block ×4, first 2 shown]
	global_load_dword v54, v87, s[8:9] offset:112
	global_load_dword v53, v31, s[8:9] offset:112
	;; [unrolled: 1-line block ×3, first 2 shown]
	v_mul_u32_u24_sdwa v28, v28, v55 dst_sel:DWORD dst_unused:UNUSED_PAD src0_sel:WORD_0 src1_sel:DWORD
	v_add3_u32 v56, 0, v28, v29
	ds_read2_b32 v[28:29], v38 offset0:72 offset1:172
	ds_read2_b32 v[32:33], v25 offset0:88 offset1:188
	;; [unrolled: 1-line block ×7, first 2 shown]
	ds_read_u16 v89, v34 offset:3602
	ds_read2_b32 v[72:73], v36 offset0:8 offset1:108
	ds_read2_b32 v[74:75], v39 offset0:80 offset1:180
	;; [unrolled: 1-line block ×6, first 2 shown]
	ds_read2_b32 v[84:85], v34 offset1:100
	ds_read2_b32 v[86:87], v47 offset0:112 offset1:212
	s_waitcnt vmcnt(0) lgkmcnt(0)
	s_barrier
	v_add_nc_u32_e32 v88, 0x200, v56
	buffer_gl0_inv
	v_lshrrev_b32_e32 v95, 16, v64
	v_lshrrev_b32_e32 v97, 16, v65
	;; [unrolled: 1-line block ×29, first 2 shown]
	v_mul_f16_sdwa v117, v12, v29 dst_sel:DWORD dst_unused:UNUSED_PAD src0_sel:WORD_1 src1_sel:DWORD
	v_mul_f16_sdwa v118, v12, v90 dst_sel:DWORD dst_unused:UNUSED_PAD src0_sel:WORD_1 src1_sel:DWORD
	;; [unrolled: 1-line block ×5, first 2 shown]
	v_mul_f16_sdwa v122, v30, v15 dst_sel:DWORD dst_unused:UNUSED_PAD src0_sel:DWORD src1_sel:WORD_1
	v_mul_f16_sdwa v123, v89, v14 dst_sel:DWORD dst_unused:UNUSED_PAD src0_sel:DWORD src1_sel:WORD_1
	;; [unrolled: 1-line block ×23, first 2 shown]
	v_fmac_f16_e32 v117, v12, v90
	v_mul_f16_sdwa v90, v75, v2 dst_sel:DWORD dst_unused:UNUSED_PAD src0_sel:DWORD src1_sel:WORD_1
	v_fmac_f16_e32 v119, v13, v91
	v_mul_f16_sdwa v91, v103, v2 dst_sel:DWORD dst_unused:UNUSED_PAD src0_sel:DWORD src1_sel:WORD_1
	;; [unrolled: 2-line block ×4, first 2 shown]
	v_fma_f16 v12, v12, v29, -v118
	v_fma_f16 v13, v13, v32, -v120
	;; [unrolled: 1-line block ×4, first 2 shown]
	v_mul_f16_sdwa v29, v105, v21 dst_sel:DWORD dst_unused:UNUSED_PAD src0_sel:DWORD src1_sel:WORD_1
	v_mul_f16_sdwa v32, v106, v23 dst_sel:DWORD dst_unused:UNUSED_PAD src0_sel:DWORD src1_sel:WORD_1
	;; [unrolled: 1-line block ×6, first 2 shown]
	v_fmac_f16_e32 v129, v95, v8
	v_mul_f16_sdwa v95, v110, v17 dst_sel:DWORD dst_unused:UNUSED_PAD src0_sel:DWORD src1_sel:WORD_1
	v_fmac_f16_e32 v128, v94, v11
	v_mul_f16_sdwa v94, v74, v17 dst_sel:DWORD dst_unused:UNUSED_PAD src0_sel:DWORD src1_sel:WORD_1
	v_fma_f16 v64, v64, v8, -v131
	v_fma_f16 v8, v65, v4, -v133
	v_mul_f16_sdwa v65, v113, v54 dst_sel:DWORD dst_unused:UNUSED_PAD src0_sel:DWORD src1_sel:WORD_1
	v_mul_f16_sdwa v131, v83, v54 dst_sel:DWORD dst_unused:UNUSED_PAD src0_sel:DWORD src1_sel:WORD_1
	;; [unrolled: 1-line block ×4, first 2 shown]
	v_fma_f16 v33, v33, v9, -v125
	v_fma_f16 v31, v31, v11, -v126
	v_fmac_f16_e32 v127, v93, v9
	v_mul_f16_sdwa v93, v109, v16 dst_sel:DWORD dst_unused:UNUSED_PAD src0_sel:DWORD src1_sel:WORD_1
	v_mul_f16_sdwa v9, v79, v16 dst_sel:DWORD dst_unused:UNUSED_PAD src0_sel:DWORD src1_sel:WORD_1
	v_fmac_f16_e32 v130, v96, v10
	v_fma_f16 v66, v66, v10, -v132
	v_mul_f16_sdwa v96, v111, v18 dst_sel:DWORD dst_unused:UNUSED_PAD src0_sel:DWORD src1_sel:WORD_1
	v_mul_f16_sdwa v10, v81, v18 dst_sel:DWORD dst_unused:UNUSED_PAD src0_sel:DWORD src1_sel:WORD_1
	;; [unrolled: 1-line block ×4, first 2 shown]
	v_fma_f16 v68, v68, v5, -v134
	v_mul_f16_sdwa v133, v115, v53 dst_sel:DWORD dst_unused:UNUSED_PAD src0_sel:DWORD src1_sel:WORD_1
	v_fma_f16 v67, v67, v6, -v135
	v_mul_f16_sdwa v134, v116, v57 dst_sel:DWORD dst_unused:UNUSED_PAD src0_sel:DWORD src1_sel:WORD_1
	v_mul_f16_sdwa v11, v87, v57 dst_sel:DWORD dst_unused:UNUSED_PAD src0_sel:DWORD src1_sel:WORD_1
	v_fmac_f16_e32 v59, v97, v4
	v_fmac_f16_e32 v61, v98, v5
	;; [unrolled: 1-line block ×4, first 2 shown]
	v_fma_f16 v4, v70, v7, -v136
	v_fma_f16 v5, v71, v0, -v137
	v_fmac_f16_e32 v138, v101, v0
	v_fmac_f16_e32 v139, v102, v1
	;; [unrolled: 1-line block ×4, first 2 shown]
	v_fma_f16 v0, v72, v1, -v140
	v_fma_f16 v1, v75, v2, -v91
	;; [unrolled: 1-line block ×5, first 2 shown]
	v_fmac_f16_e32 v118, v107, v20
	v_fmac_f16_e32 v123, v108, v22
	v_fma_f16 v7, v78, v20, -v120
	v_fma_f16 v20, v80, v22, -v124
	;; [unrolled: 1-line block ×3, first 2 shown]
	v_fmac_f16_e32 v94, v110, v17
	v_fma_f16 v17, v83, v54, -v65
	v_fmac_f16_e32 v131, v113, v54
	v_mul_f16_sdwa v132, v86, v53 dst_sel:DWORD dst_unused:UNUSED_PAD src0_sel:DWORD src1_sel:WORD_1
	v_fmac_f16_e32 v30, v105, v21
	v_fmac_f16_e32 v69, v106, v23
	v_fma_f16 v21, v79, v16, -v93
	v_fma_f16 v23, v81, v18, -v96
	v_fmac_f16_e32 v9, v109, v16
	v_fmac_f16_e32 v10, v111, v18
	;; [unrolled: 1-line block ×3, first 2 shown]
	v_fma_f16 v16, v82, v19, -v126
	v_fma_f16 v18, v86, v53, -v133
	;; [unrolled: 1-line block ×3, first 2 shown]
	v_fmac_f16_e32 v11, v116, v57
	v_sub_f16_e32 v29, v13, v15
	v_sub_f16_e32 v32, v2, v0
	;; [unrolled: 1-line block ×8, first 2 shown]
	v_add_f16_e32 v99, v84, v13
	v_sub_f16_e32 v105, v15, v13
	v_sub_f16_e32 v106, v0, v2
	v_fmac_f16_e32 v132, v115, v53
	v_sub_f16_e32 v53, v119, v122
	v_sub_f16_e32 v54, v89, v139
	v_add_f16_e32 v76, v7, v20
	v_add_f16_e32 v77, v66, v18
	;; [unrolled: 1-line block ×5, first 2 shown]
	v_sub_f16_e32 v107, v122, v119
	v_sub_f16_e32 v109, v139, v89
	v_add_f16_e32 v111, v12, v14
	v_add_f16_e32 v115, v138, v90
	;; [unrolled: 1-line block ×9, first 2 shown]
	v_sub_f16_e32 v65, v9, v60
	v_add_f16_e32 v70, v70, v98
	v_sub_f16_e32 v98, v10, v11
	v_add_f16_e32 v105, v105, v106
	;; [unrolled: 2-line block ×3, first 2 shown]
	v_add_f16_e32 v110, v14, v17
	v_add_f16_e32 v81, v118, v123
	;; [unrolled: 1-line block ×4, first 2 shown]
	v_sub_f16_e32 v92, v118, v123
	v_add_f16_e32 v104, v122, v139
	v_add_f16_e32 v108, v119, v89
	v_sub_f16_e32 v112, v5, v14
	v_sub_f16_e32 v124, v138, v121
	v_fma_f16 v76, -0.5, v76, v64
	v_fmac_f16_e32 v64, -0.5, v77
	v_add_f16_e32 v53, v53, v54
	v_add_f16_e32 v54, v59, v60
	;; [unrolled: 1-line block ×3, first 2 shown]
	v_sub_f16_e32 v109, v5, v1
	v_fma_f16 v103, -0.5, v103, v12
	v_sub_f16_e32 v14, v14, v17
	v_sub_f16_e32 v121, v121, v131
	v_fma_f16 v115, -0.5, v115, v117
	v_fmac_f16_e32 v117, -0.5, v116
	v_fma_f16 v75, -0.5, v75, v59
	v_fmac_f16_e32 v59, -0.5, v32
	v_add_f16_e32 v32, v65, v98
	v_add_f16_e32 v65, v102, v122
	;; [unrolled: 1-line block ×5, first 2 shown]
	v_fmac_f16_e32 v12, -0.5, v110
	v_sub_f16_e32 v110, v138, v90
	v_add_f16_e32 v71, v31, v3
	v_add_f16_e32 v72, v33, v6
	;; [unrolled: 1-line block ×5, first 2 shown]
	v_fma_f16 v81, -0.5, v81, v129
	v_fmac_f16_e32 v129, -0.5, v82
	v_add_f16_e32 v82, v67, v19
	v_sub_f16_e32 v79, v7, v66
	v_sub_f16_e32 v80, v20, v18
	;; [unrolled: 1-line block ×6, first 2 shown]
	v_fma_f16 v104, -0.5, v104, v114
	v_fmac_f16_e32 v114, -0.5, v108
	v_sub_f16_e32 v108, v122, v139
	v_sub_f16_e32 v13, v13, v2
	v_fmamk_f16 v99, v92, 0xbb9c, v64
	v_fmac_f16_e32 v64, 0x3b9c, v92
	v_add_f16_e32 v15, v65, v139
	v_add_f16_e32 v1, v5, v1
	;; [unrolled: 1-line block ×3, first 2 shown]
	v_fmamk_f16 v122, v121, 0x3b9c, v103
	v_fmamk_f16 v138, v109, 0x3b9c, v117
	v_add_f16_e32 v0, v0, v2
	v_fmamk_f16 v2, v14, 0xbb9c, v115
	v_sub_f16_e32 v119, v119, v89
	v_fma_f16 v100, -0.5, v100, v84
	v_fmamk_f16 v120, v110, 0xbb9c, v12
	v_fmac_f16_e32 v12, 0x3b9c, v110
	v_fmac_f16_e32 v103, 0xbb9c, v121
	;; [unrolled: 1-line block ×3, first 2 shown]
	v_add_f16_e32 v73, v85, v33
	v_sub_f16_e32 v86, v118, v130
	v_sub_f16_e32 v87, v123, v132
	v_sub_f16_e32 v136, v4, v68
	v_sub_f16_e32 v137, v22, v16
	v_fma_f16 v71, -0.5, v71, v85
	v_fmac_f16_e32 v85, -0.5, v72
	v_add_f16_e32 v72, v8, v67
	v_sub_f16_e32 v116, v9, v10
	v_fma_f16 v77, -0.5, v77, v8
	v_fmac_f16_e32 v8, -0.5, v82
	v_fma_f16 v84, -0.5, v101, v84
	v_fmac_f16_e32 v115, 0x3b9c, v14
	v_sub_f16_e32 v91, v128, v30
	v_sub_f16_e32 v97, v66, v18
	v_add_f16_e32 v79, v79, v80
	v_add_f16_e32 v124, v124, v126
	v_fmamk_f16 v101, v93, 0x3b9c, v129
	v_fmac_f16_e32 v129, 0xbb9c, v93
	v_fmamk_f16 v98, v106, 0x3b9c, v114
	v_fmac_f16_e32 v114, 0xbb9c, v106
	v_add_f16_e32 v15, v15, v89
	v_add_f16_e32 v1, v1, v17
	;; [unrolled: 1-line block ×3, first 2 shown]
	v_fmac_f16_e32 v64, 0xb8b4, v96
	v_fmac_f16_e32 v138, 0xb8b4, v14
	;; [unrolled: 1-line block ×4, first 2 shown]
	v_add_f16_e32 v112, v112, v113
	v_fmamk_f16 v90, v119, 0x3b9c, v100
	v_fmac_f16_e32 v100, 0xbb9c, v119
	v_fmamk_f16 v111, v13, 0xbb9c, v104
	v_fmac_f16_e32 v104, 0x3b9c, v13
	v_fmac_f16_e32 v120, 0x38b4, v121
	;; [unrolled: 1-line block ×5, first 2 shown]
	v_sub_f16_e32 v80, v21, v67
	v_add_f16_e32 v86, v86, v87
	v_sub_f16_e32 v87, v23, v19
	v_sub_f16_e32 v126, v21, v23
	v_add_f16_e32 v136, v136, v137
	v_sub_f16_e32 v137, v60, v11
	v_fmamk_f16 v65, v108, 0xbb9c, v84
	v_fmac_f16_e32 v84, 0x3b9c, v108
	v_fmamk_f16 v89, v116, 0xbb9c, v8
	v_fmac_f16_e32 v8, 0x3b9c, v116
	v_fmac_f16_e32 v115, 0x38b4, v109
	v_sub_f16_e32 v95, v127, v69
	v_fmamk_f16 v102, v91, 0xbb9c, v85
	v_fmac_f16_e32 v85, 0x3b9c, v91
	v_fmac_f16_e32 v129, 0x38b4, v97
	;; [unrolled: 1-line block ×7, first 2 shown]
	v_add_f16_e32 v13, v0, v1
	v_fmac_f16_e32 v2, 0x34f2, v70
	v_sub_f16_e32 v0, v0, v1
	v_add_f16_e32 v1, v15, v5
	v_sub_f16_e32 v5, v15, v5
	v_fmac_f16_e32 v90, 0x38b4, v108
	v_fmac_f16_e32 v100, 0xb8b4, v108
	;; [unrolled: 1-line block ×8, first 2 shown]
	v_sub_f16_e32 v82, v67, v19
	v_add_f16_e32 v80, v80, v87
	v_fmamk_f16 v17, v126, 0x3b9c, v59
	v_fmac_f16_e32 v59, 0xbb9c, v126
	v_fmac_f16_e32 v65, 0x38b4, v119
	;; [unrolled: 1-line block ×7, first 2 shown]
	v_mul_f16_e32 v14, 0x34f2, v64
	v_mul_f16_e32 v15, 0x38b4, v2
	v_pack_b32_f16 v1, v13, v1
	v_mul_f16_e32 v13, 0xb8b4, v122
	v_pack_b32_f16 v0, v0, v5
	v_mul_f16_e32 v5, 0x3b9c, v138
	v_fmac_f16_e32 v90, 0x34f2, v29
	v_fmac_f16_e32 v100, 0x34f2, v29
	;; [unrolled: 1-line block ×4, first 2 shown]
	v_mul_f16_e32 v29, 0xbb9c, v120
	v_mul_f16_e32 v53, 0x34f2, v12
	;; [unrolled: 1-line block ×4, first 2 shown]
	v_fmac_f16_e32 v59, 0x38b4, v82
	v_fmac_f16_e32 v65, 0x34f2, v105
	;; [unrolled: 1-line block ×4, first 2 shown]
	v_mul_f16_e32 v105, 0x3a79, v115
	v_add_f16_e32 v133, v4, v22
	v_add_f16_e32 v134, v68, v16
	v_fmac_f16_e32 v85, 0x34f2, v74
	v_fma_f16 v14, v129, 0x3b9c, -v14
	v_fmac_f16_e32 v15, 0x3a79, v122
	v_fmac_f16_e32 v13, 0x3a79, v2
	;; [unrolled: 1-line block ×6, first 2 shown]
	v_fma_f16 v2, v117, 0x3b9c, -v53
	v_fma_f16 v12, v12, 0xbb9c, -v57
	;; [unrolled: 1-line block ×3, first 2 shown]
	v_fmac_f16_e32 v59, 0x34f2, v32
	v_mul_f16_e32 v106, 0x34f2, v8
	v_fma_f16 v57, v103, 0xb8b4, -v105
	v_add_f16_e32 v135, v28, v68
	v_sub_f16_e32 v113, v62, v94
	v_fma_f16 v133, -0.5, v133, v28
	v_fmac_f16_e32 v28, -0.5, v134
	v_add_f16_e32 v103, v85, v14
	v_sub_f16_e32 v14, v85, v14
	v_add_f16_e32 v85, v90, v15
	v_sub_f16_e32 v15, v90, v15
	;; [unrolled: 2-line block ×3, first 2 shown]
	v_add_f16_e32 v65, v111, v13
	v_add_f16_e32 v105, v98, v29
	v_sub_f16_e32 v29, v98, v29
	v_add_f16_e32 v98, v84, v2
	v_sub_f16_e32 v2, v84, v2
	;; [unrolled: 2-line block ×3, first 2 shown]
	v_add_f16_e32 v100, v114, v12
	v_fma_f16 v70, v59, 0x3b9c, -v106
	v_add_f16_e32 v106, v104, v57
	v_sub_f16_e32 v13, v111, v13
	v_sub_f16_e32 v12, v114, v12
	v_sub_f16_e32 v57, v104, v57
	v_sub_f16_e32 v134, v61, v125
	v_fmamk_f16 v131, v113, 0xbb9c, v28
	v_fmac_f16_e32 v28, 0x3b9c, v113
	v_pack_b32_f16 v65, v85, v65
	v_pack_b32_f16 v85, v90, v105
	;; [unrolled: 1-line block ×8, first 2 shown]
	v_sub_f16_e32 v87, v33, v31
	v_fmac_f16_e32 v28, 0xb8b4, v134
	ds_write2_b32 v56, v1, v65 offset1:30
	ds_write2_b32 v56, v85, v90 offset0:60 offset1:90
	ds_write2_b32 v56, v84, v0 offset0:120 offset1:150
	;; [unrolled: 1-line block ×4, first 2 shown]
	v_sub_f16_e32 v0, v6, v3
	v_fmamk_f16 v1, v95, 0x3b9c, v71
	v_fmac_f16_e32 v71, 0xbb9c, v95
	v_add_f16_e32 v5, v73, v31
	v_fmac_f16_e32 v28, 0x34f2, v136
	v_add_f16_e32 v0, v87, v0
	v_fmac_f16_e32 v1, 0x38b4, v91
	v_fmac_f16_e32 v71, 0xb8b4, v91
	v_add_f16_e32 v5, v5, v3
	v_add_f16_e32 v13, v128, v30
	;; [unrolled: 1-line block ×3, first 2 shown]
	v_sub_f16_e32 v12, v28, v70
	v_fmac_f16_e32 v1, 0x34f2, v0
	v_fmac_f16_e32 v71, 0x34f2, v0
	v_add_f16_e32 v0, v5, v6
	v_add_f16_e32 v5, v63, v127
	v_sub_f16_e32 v6, v33, v6
	v_sub_f16_e32 v15, v127, v128
	;; [unrolled: 1-line block ×3, first 2 shown]
	v_fma_f16 v13, -0.5, v13, v63
	v_add_f16_e32 v5, v5, v128
	v_sub_f16_e32 v3, v31, v3
	v_add_f16_e32 v29, v127, v69
	v_add_f16_e32 v15, v15, v28
	v_fmamk_f16 v28, v6, 0xbb9c, v13
	v_fmac_f16_e32 v13, 0x3b9c, v6
	v_add_f16_e32 v5, v5, v30
	v_fmac_f16_e32 v63, -0.5, v29
	v_sub_f16_e32 v29, v128, v127
	v_fmac_f16_e32 v28, 0xb8b4, v3
	v_fmac_f16_e32 v13, 0x38b4, v3
	v_sub_f16_e32 v30, v30, v69
	v_fmamk_f16 v31, v3, 0x3b9c, v63
	v_fmac_f16_e32 v63, 0xbb9c, v3
	v_fmac_f16_e32 v28, 0x34f2, v15
	;; [unrolled: 1-line block ×3, first 2 shown]
	v_add_f16_e32 v3, v29, v30
	v_add_f16_e32 v15, v78, v7
	v_sub_f16_e32 v7, v66, v7
	v_sub_f16_e32 v29, v18, v20
	v_fmamk_f16 v30, v96, 0x3b9c, v76
	v_fmac_f16_e32 v31, 0xb8b4, v6
	v_fmac_f16_e32 v76, 0xbb9c, v96
	v_fmac_f16_e32 v63, 0x38b4, v6
	v_add_f16_e32 v6, v15, v20
	v_add_f16_e32 v7, v7, v29
	v_fmac_f16_e32 v30, 0x38b4, v92
	v_sub_f16_e32 v15, v130, v118
	v_sub_f16_e32 v20, v132, v123
	v_fmamk_f16 v29, v97, 0xbb9c, v81
	v_fmac_f16_e32 v76, 0xb8b4, v92
	v_fmac_f16_e32 v99, 0x38b4, v96
	;; [unrolled: 1-line block ×4, first 2 shown]
	v_add_f16_e32 v3, v6, v18
	v_add_f16_e32 v6, v15, v20
	v_fmac_f16_e32 v29, 0xb8b4, v93
	v_fmac_f16_e32 v30, 0x34f2, v7
	;; [unrolled: 1-line block ×3, first 2 shown]
	v_add_f16_e32 v7, v83, v118
	v_fmac_f16_e32 v99, 0x34f2, v79
	v_fmac_f16_e32 v29, 0x34f2, v6
	;; [unrolled: 1-line block ×3, first 2 shown]
	v_mul_f16_e32 v18, 0xb8b4, v30
	v_add_f16_e32 v7, v7, v123
	v_mul_f16_e32 v20, 0xbb9c, v99
	v_mul_f16_e32 v15, 0x38b4, v29
	v_fmac_f16_e32 v101, 0x34f2, v86
	v_fmac_f16_e32 v18, 0x3a79, v29
	v_mul_f16_e32 v29, 0x34f2, v129
	v_add_f16_e32 v5, v5, v69
	v_fmac_f16_e32 v81, 0x3b9c, v97
	v_add_f16_e32 v7, v7, v132
	v_fmac_f16_e32 v20, 0x34f2, v101
	v_fma_f16 v29, v64, 0xbb9c, -v29
	v_sub_f16_e32 v64, v16, v22
	v_fmac_f16_e32 v81, 0x38b4, v93
	v_add_f16_e32 v57, v5, v7
	v_sub_f16_e32 v5, v5, v7
	v_add_f16_e32 v7, v28, v18
	v_sub_f16_e32 v18, v28, v18
	;; [unrolled: 2-line block ×3, first 2 shown]
	v_sub_f16_e32 v31, v68, v4
	v_add_f16_e32 v65, v63, v29
	v_fmamk_f16 v66, v134, 0x3b9c, v133
	v_fmac_f16_e32 v133, 0xbb9c, v134
	v_sub_f16_e32 v29, v63, v29
	v_add_f16_e32 v63, v135, v4
	v_fmac_f16_e32 v81, 0x34f2, v6
	v_add_f16_e32 v31, v31, v64
	v_fmac_f16_e32 v66, 0x38b4, v113
	v_fmac_f16_e32 v133, 0xb8b4, v113
	v_add_f16_e32 v63, v63, v22
	v_mul_f16_e32 v33, 0x3a79, v81
	v_sub_f16_e32 v69, v125, v94
	v_fmac_f16_e32 v66, 0x34f2, v31
	v_fmac_f16_e32 v133, 0x34f2, v31
	v_add_f16_e32 v31, v63, v16
	v_add_f16_e32 v63, v62, v94
	v_fma_f16 v33, v76, 0xb8b4, -v33
	v_sub_f16_e32 v16, v68, v16
	v_sub_f16_e32 v68, v61, v62
	v_sub_f16_e32 v4, v4, v22
	v_fma_f16 v63, -0.5, v63, v58
	v_add_f16_e32 v22, v61, v125
	v_add_f16_e32 v64, v13, v33
	v_sub_f16_e32 v13, v13, v33
	v_add_f16_e32 v33, v58, v61
	v_add_f16_e32 v68, v68, v69
	v_fmamk_f16 v69, v16, 0xbb9c, v63
	v_fmac_f16_e32 v63, 0x3b9c, v16
	v_fmac_f16_e32 v58, -0.5, v22
	v_sub_f16_e32 v22, v62, v61
	v_sub_f16_e32 v61, v94, v125
	v_add_f16_e32 v33, v33, v62
	v_fmac_f16_e32 v69, 0xb8b4, v4
	v_fmac_f16_e32 v63, 0x38b4, v4
	v_fmamk_f16 v62, v4, 0x3b9c, v58
	v_fmac_f16_e32 v58, 0xbb9c, v4
	v_add_f16_e32 v4, v22, v61
	v_add_f16_e32 v22, v72, v21
	v_sub_f16_e32 v21, v67, v21
	v_fmac_f16_e32 v62, 0xb8b4, v16
	v_sub_f16_e32 v61, v19, v23
	v_fmamk_f16 v67, v137, 0x3b9c, v77
	v_fmac_f16_e32 v58, 0x38b4, v16
	v_add_f16_e32 v16, v22, v23
	v_sub_f16_e32 v22, v60, v9
	v_sub_f16_e32 v23, v11, v10
	v_fmamk_f16 v60, v82, 0xbb9c, v75
	v_add_f16_e32 v9, v54, v9
	v_fmac_f16_e32 v77, 0xbb9c, v137
	v_add_f16_e32 v21, v21, v61
	v_fmac_f16_e32 v67, 0x38b4, v116
	v_fmac_f16_e32 v62, 0x34f2, v4
	v_fmac_f16_e32 v58, 0x34f2, v4
	v_add_f16_e32 v4, v16, v19
	v_add_f16_e32 v16, v22, v23
	v_fmac_f16_e32 v60, 0xb8b4, v126
	v_fmac_f16_e32 v75, 0x3b9c, v82
	v_add_f16_e32 v33, v33, v94
	v_add_f16_e32 v9, v9, v10
	v_fmac_f16_e32 v77, 0xb8b4, v116
	v_fmac_f16_e32 v89, 0x38b4, v137
	;; [unrolled: 1-line block ×7, first 2 shown]
	v_mul_f16_e32 v6, 0x3b9c, v101
	v_add_f16_e32 v33, v33, v125
	v_fmac_f16_e32 v17, 0xb8b4, v82
	v_add_f16_e32 v9, v9, v11
	v_mul_f16_e32 v30, 0x3a79, v76
	v_fmac_f16_e32 v77, 0x34f2, v21
	v_fmac_f16_e32 v89, 0x34f2, v80
	v_mul_f16_e32 v10, 0x38b4, v60
	v_mul_f16_e32 v19, 0xb8b4, v67
	v_fmac_f16_e32 v75, 0x34f2, v16
	v_fmac_f16_e32 v102, 0x34f2, v74
	;; [unrolled: 1-line block ×3, first 2 shown]
	v_add_f16_e32 v53, v0, v3
	v_sub_f16_e32 v0, v0, v3
	v_add_f16_e32 v3, v1, v15
	v_fmac_f16_e32 v17, 0x34f2, v32
	v_add_f16_e32 v54, v33, v9
	v_sub_f16_e32 v9, v33, v9
	v_mul_u32_u24_sdwa v33, v50, v55 dst_sel:DWORD dst_unused:UNUSED_PAD src0_sel:WORD_0 src1_sel:DWORD
	v_lshlrev_b32_sdwa v50, v48, v51 dst_sel:DWORD dst_unused:UNUSED_PAD src0_sel:DWORD src1_sel:BYTE_0
	v_fma_f16 v30, v81, 0x38b4, -v30
	v_sub_f16_e32 v1, v1, v15
	v_fmac_f16_e32 v69, 0x34f2, v68
	v_fmac_f16_e32 v10, 0x3a79, v67
	;; [unrolled: 1-line block ×3, first 2 shown]
	v_mul_f16_e32 v16, 0xbb9c, v89
	v_mul_f16_e32 v21, 0x34f2, v59
	;; [unrolled: 1-line block ×4, first 2 shown]
	v_add_f16_e32 v15, v102, v6
	v_fmac_f16_e32 v131, 0x38b4, v134
	v_mul_f16_e32 v11, 0x3b9c, v17
	v_add3_u32 v33, 0, v33, v50
	v_pack_b32_f16 v50, v53, v57
	v_pack_b32_f16 v3, v3, v7
	v_add_f16_e32 v56, v71, v30
	v_sub_f16_e32 v6, v102, v6
	v_sub_f16_e32 v30, v71, v30
	v_fmac_f16_e32 v16, 0x34f2, v17
	v_fma_f16 v8, v8, 0xbb9c, -v21
	v_fma_f16 v17, v75, 0x38b4, -v22
	;; [unrolled: 1-line block ×3, first 2 shown]
	v_add_f16_e32 v22, v31, v4
	v_add_f16_e32 v23, v66, v10
	;; [unrolled: 1-line block ×3, first 2 shown]
	v_pack_b32_f16 v0, v0, v5
	v_pack_b32_f16 v1, v1, v18
	v_mul_u32_u24_e32 v5, 0x4b0, v49
	v_lshlrev_b32_sdwa v18, v48, v52 dst_sel:DWORD dst_unused:UNUSED_PAD src0_sel:DWORD src1_sel:WORD_0
	v_fmac_f16_e32 v131, 0x34f2, v136
	v_fmac_f16_e32 v11, 0x34f2, v89
	v_sub_f16_e32 v4, v31, v4
	ds_write2_b32 v33, v50, v3 offset1:30
	v_pack_b32_f16 v3, v15, v28
	v_pack_b32_f16 v15, v103, v65
	v_fmac_f16_e32 v63, 0x34f2, v68
	v_pack_b32_f16 v28, v56, v64
	v_pack_b32_f16 v6, v6, v20
	v_pack_b32_f16 v14, v14, v29
	v_pack_b32_f16 v13, v30, v13
	v_add_nc_u32_e32 v20, 0x200, v33
	v_add3_u32 v5, 0, v5, v18
	v_pack_b32_f16 v18, v22, v54
	v_pack_b32_f16 v22, v23, v51
	v_add_f16_e32 v31, v131, v11
	v_sub_f16_e32 v11, v131, v11
	v_add_f16_e32 v55, v62, v16
	v_sub_f16_e32 v16, v62, v16
	v_add_f16_e32 v7, v58, v8
	ds_write2_b32 v33, v3, v15 offset0:60 offset1:90
	ds_write2_b32 v33, v28, v0 offset0:120 offset1:150
	;; [unrolled: 1-line block ×4, first 2 shown]
	ds_write2_b32 v5, v18, v22 offset1:30
	v_pack_b32_f16 v3, v4, v9
	v_mul_u32_u24_e32 v9, 9, v24
	v_add_f16_e32 v32, v133, v17
	v_add_f16_e32 v53, v63, v21
	v_sub_f16_e32 v10, v66, v10
	v_sub_f16_e32 v19, v69, v19
	v_pack_b32_f16 v0, v31, v55
	v_pack_b32_f16 v1, v2, v7
	;; [unrolled: 1-line block ×3, first 2 shown]
	v_lshlrev_b32_e32 v16, 2, v9
	v_pack_b32_f16 v2, v32, v53
	v_pack_b32_f16 v4, v10, v19
	ds_write2_b32 v5, v0, v1 offset0:60 offset1:90
	ds_write2_b32 v5, v2, v3 offset0:120 offset1:150
	ds_write2_b32 v5, v4, v6 offset0:180 offset1:210
	v_add_co_u32 v0, s0, s8, v16
	v_sub_f16_e32 v17, v133, v17
	v_sub_f16_e32 v8, v58, v8
	v_sub_f16_e32 v21, v63, v21
	v_add_co_ci_u32_e64 v1, null, s9, 0, s0
	v_add_co_u32 v4, s0, 0xe10, v0
	v_pack_b32_f16 v7, v12, v8
	v_pack_b32_f16 v8, v17, v21
	v_add_nc_u32_e32 v10, 0x200, v5
	v_add_co_ci_u32_e64 v5, s0, 0, v1, s0
	ds_write2_b32 v10, v7, v8 offset0:112 offset1:142
	s_waitcnt lgkmcnt(0)
	s_barrier
	buffer_gl0_inv
	s_clause 0x1
	global_load_dwordx4 v[6:9], v16, s[8:9] offset:1160
	global_load_dwordx4 v[12:15], v[4:5], off offset:1160
	v_add_co_u32 v10, s0, 0x1c20, v0
	v_add_co_ci_u32_e64 v11, s0, 0, v1, s0
	s_clause 0x6
	global_load_dwordx4 v[52:55], v[10:11], off offset:1160
	global_load_dwordx4 v[57:60], v16, s[8:9] offset:1176
	global_load_dwordx4 v[79:82], v[4:5], off offset:1176
	global_load_dwordx4 v[0:3], v[10:11], off offset:1176
	global_load_dword v87, v16, s[8:9] offset:1192
	global_load_dword v88, v[4:5], off offset:1192
	global_load_dword v77, v[10:11], off offset:1192
	ds_read2_b32 v[16:17], v35 offset0:48 offset1:148
	ds_read2_b32 v[4:5], v38 offset0:72 offset1:172
	;; [unrolled: 1-line block ×8, first 2 shown]
	s_waitcnt lgkmcnt(7)
	v_lshrrev_b32_e32 v69, 16, v17
	s_waitcnt lgkmcnt(6)
	v_lshrrev_b32_e32 v20, 16, v5
	;; [unrolled: 2-line block ×3, first 2 shown]
	v_lshrrev_b32_e32 v48, 16, v18
	s_waitcnt lgkmcnt(4)
	v_lshrrev_b32_e32 v49, 16, v23
	s_waitcnt lgkmcnt(3)
	;; [unrolled: 2-line block ×3, first 2 shown]
	v_lshrrev_b32_e32 v73, 16, v63
	v_lshrrev_b32_e32 v74, 16, v29
	;; [unrolled: 1-line block ×5, first 2 shown]
	s_waitcnt vmcnt(8)
	v_mul_f16_sdwa v50, v6, v20 dst_sel:DWORD dst_unused:UNUSED_PAD src0_sel:WORD_1 src1_sel:DWORD
	v_mul_f16_sdwa v62, v7, v48 dst_sel:DWORD dst_unused:UNUSED_PAD src0_sel:WORD_1 src1_sel:DWORD
	s_waitcnt vmcnt(7)
	v_mul_f16_sdwa v85, v30, v13 dst_sel:DWORD dst_unused:UNUSED_PAD src0_sel:DWORD src1_sel:WORD_1
	v_mul_f16_sdwa v51, v6, v5 dst_sel:DWORD dst_unused:UNUSED_PAD src0_sel:WORD_1 src1_sel:DWORD
	v_mul_f16_sdwa v67, v7, v18 dst_sel:DWORD dst_unused:UNUSED_PAD src0_sel:WORD_1 src1_sel:DWORD
	v_mul_f16_sdwa v32, v19, v13 dst_sel:DWORD dst_unused:UNUSED_PAD src0_sel:DWORD src1_sel:WORD_1
	v_fma_f16 v56, v6, v5, -v50
	v_fma_f16 v71, v7, v18, -v62
	;; [unrolled: 1-line block ×3, first 2 shown]
	ds_read2_b32 v[18:19], v39 offset0:80 offset1:180
	v_fmac_f16_e32 v51, v6, v20
	ds_read2_b32 v[5:6], v37 offset0:96 offset1:196
	v_mul_f16_sdwa v61, v8, v23 dst_sel:DWORD dst_unused:UNUSED_PAD src0_sel:WORD_1 src1_sel:DWORD
	v_mul_f16_sdwa v70, v8, v49 dst_sel:DWORD dst_unused:UNUSED_PAD src0_sel:WORD_1 src1_sel:DWORD
	v_mul_f16_sdwa v86, v69, v15 dst_sel:DWORD dst_unused:UNUSED_PAD src0_sel:DWORD src1_sel:WORD_1
	v_mul_f16_sdwa v21, v28, v12 dst_sel:DWORD dst_unused:UNUSED_PAD src0_sel:DWORD src1_sel:WORD_1
	v_mul_f16_sdwa v89, v72, v12 dst_sel:DWORD dst_unused:UNUSED_PAD src0_sel:DWORD src1_sel:WORD_1
	v_mul_f16_sdwa v90, v73, v14 dst_sel:DWORD dst_unused:UNUSED_PAD src0_sel:DWORD src1_sel:WORD_1
	s_waitcnt vmcnt(6)
	v_mul_f16_sdwa v91, v74, v52 dst_sel:DWORD dst_unused:UNUSED_PAD src0_sel:DWORD src1_sel:WORD_1
	v_mul_f16_sdwa v68, v16, v9 dst_sel:DWORD dst_unused:UNUSED_PAD src0_sel:DWORD src1_sel:WORD_1
	v_mul_f16_sdwa v78, v10, v9 dst_sel:DWORD dst_unused:UNUSED_PAD src0_sel:DWORD src1_sel:WORD_1
	v_mul_f16_sdwa v33, v17, v15 dst_sel:DWORD dst_unused:UNUSED_PAD src0_sel:DWORD src1_sel:WORD_1
	v_mul_f16_sdwa v31, v63, v14 dst_sel:DWORD dst_unused:UNUSED_PAD src0_sel:DWORD src1_sel:WORD_1
	v_mul_f16_sdwa v11, v29, v52 dst_sel:DWORD dst_unused:UNUSED_PAD src0_sel:DWORD src1_sel:WORD_1
	v_mul_f16_sdwa v92, v75, v53 dst_sel:DWORD dst_unused:UNUSED_PAD src0_sel:DWORD src1_sel:WORD_1
	v_mul_f16_sdwa v93, v76, v54 dst_sel:DWORD dst_unused:UNUSED_PAD src0_sel:DWORD src1_sel:WORD_1
	v_fmac_f16_e32 v67, v7, v48
	v_fmac_f16_e32 v61, v8, v49
	v_fma_f16 v62, v8, v23, -v70
	v_fma_f16 v49, v17, v15, -v86
	v_fmac_f16_e32 v21, v72, v12
	v_fmac_f16_e32 v32, v30, v13
	v_fma_f16 v28, v28, v12, -v89
	v_fma_f16 v48, v63, v14, -v90
	;; [unrolled: 1-line block ×3, first 2 shown]
	s_waitcnt lgkmcnt(3)
	v_lshrrev_b32_e32 v7, 16, v65
	v_lshrrev_b32_e32 v8, 16, v66
	s_waitcnt vmcnt(5)
	v_mul_f16_sdwa v63, v66, v57 dst_sel:DWORD dst_unused:UNUSED_PAD src0_sel:DWORD src1_sel:WORD_1
	ds_read2_b32 v[29:30], v43 offset0:64 offset1:164
	ds_read2_b32 v[85:86], v46 offset0:152 offset1:252
	v_fmac_f16_e32 v68, v10, v9
	v_fma_f16 v70, v16, v9, -v78
	v_fmac_f16_e32 v31, v73, v14
	v_fmac_f16_e32 v33, v69, v15
	v_fma_f16 v17, v22, v53, -v92
	v_mul_f16_sdwa v15, v22, v53 dst_sel:DWORD dst_unused:UNUSED_PAD src0_sel:DWORD src1_sel:WORD_1
	v_fma_f16 v14, v64, v54, -v93
	v_mul_f16_sdwa v13, v64, v54 dst_sel:DWORD dst_unused:UNUSED_PAD src0_sel:DWORD src1_sel:WORD_1
	v_mul_f16_sdwa v16, v65, v55 dst_sel:DWORD dst_unused:UNUSED_PAD src0_sel:DWORD src1_sel:WORD_1
	;; [unrolled: 1-line block ×4, first 2 shown]
	s_waitcnt lgkmcnt(4)
	v_lshrrev_b32_e32 v22, 16, v83
	v_mul_f16_sdwa v73, v83, v58 dst_sel:DWORD dst_unused:UNUSED_PAD src0_sel:DWORD src1_sel:WORD_1
	v_fmac_f16_e32 v63, v8, v57
	s_waitcnt lgkmcnt(3)
	v_lshrrev_b32_e32 v8, 16, v19
	v_mul_f16_sdwa v64, v19, v59 dst_sel:DWORD dst_unused:UNUSED_PAD src0_sel:DWORD src1_sel:WORD_1
	v_fmac_f16_e32 v11, v74, v52
	v_fmac_f16_e32 v16, v7, v55
	v_fma_f16 v20, v65, v55, -v9
	v_fmac_f16_e32 v73, v22, v58
	v_mul_f16_sdwa v7, v22, v58 dst_sel:DWORD dst_unused:UNUSED_PAD src0_sel:DWORD src1_sel:WORD_1
	s_waitcnt lgkmcnt(2)
	v_lshrrev_b32_e32 v9, 16, v5
	v_mul_f16_sdwa v74, v5, v60 dst_sel:DWORD dst_unused:UNUSED_PAD src0_sel:DWORD src1_sel:WORD_1
	v_fmac_f16_e32 v64, v8, v59
	v_mul_f16_sdwa v8, v8, v59 dst_sel:DWORD dst_unused:UNUSED_PAD src0_sel:DWORD src1_sel:WORD_1
	v_lshrrev_b32_e32 v22, 16, v6
	v_fmac_f16_e32 v13, v76, v54
	v_fma_f16 v66, v66, v57, -v10
	v_lshrrev_b32_e32 v10, 16, v84
	v_fmac_f16_e32 v74, v9, v60
	v_mul_f16_sdwa v9, v9, v60 dst_sel:DWORD dst_unused:UNUSED_PAD src0_sel:DWORD src1_sel:WORD_1
	v_fma_f16 v69, v19, v59, -v8
	s_waitcnt vmcnt(4)
	v_mul_f16_sdwa v8, v22, v82 dst_sel:DWORD dst_unused:UNUSED_PAD src0_sel:DWORD src1_sel:WORD_1
	v_mul_f16_sdwa v54, v84, v80 dst_sel:DWORD dst_unused:UNUSED_PAD src0_sel:DWORD src1_sel:WORD_1
	v_fmac_f16_e32 v15, v75, v53
	v_fma_f16 v75, v83, v58, -v7
	v_mul_f16_sdwa v7, v10, v80 dst_sel:DWORD dst_unused:UNUSED_PAD src0_sel:DWORD src1_sel:WORD_1
	v_fma_f16 v76, v5, v60, -v9
	v_mul_f16_sdwa v55, v6, v82 dst_sel:DWORD dst_unused:UNUSED_PAD src0_sel:DWORD src1_sel:WORD_1
	v_fma_f16 v58, v6, v82, -v8
	v_fmac_f16_e32 v54, v10, v80
	s_waitcnt lgkmcnt(1)
	v_lshrrev_b32_e32 v5, 16, v29
	v_mul_f16_sdwa v52, v29, v79 dst_sel:DWORD dst_unused:UNUSED_PAD src0_sel:DWORD src1_sel:WORD_1
	s_waitcnt lgkmcnt(0)
	v_lshrrev_b32_e32 v6, 16, v85
	v_mul_f16_sdwa v53, v85, v81 dst_sel:DWORD dst_unused:UNUSED_PAD src0_sel:DWORD src1_sel:WORD_1
	ds_read2_b32 v[9:10], v42 offset0:40 offset1:140
	v_fma_f16 v57, v84, v80, -v7
	v_fmac_f16_e32 v55, v22, v82
	v_fmac_f16_e32 v52, v5, v79
	v_mul_f16_sdwa v19, v5, v79 dst_sel:DWORD dst_unused:UNUSED_PAD src0_sel:DWORD src1_sel:WORD_1
	v_lshrrev_b32_e32 v65, 16, v30
	v_fmac_f16_e32 v53, v6, v81
	v_mul_f16_sdwa v22, v6, v81 dst_sel:DWORD dst_unused:UNUSED_PAD src0_sel:DWORD src1_sel:WORD_1
	v_lshrrev_b32_e32 v72, 16, v18
	ds_read2_b32 v[7:8], v47 offset0:112 offset1:212
	ds_read2_b32 v[5:6], v34 offset1:100
	s_waitcnt vmcnt(3)
	v_mul_f16_sdwa v23, v65, v0 dst_sel:DWORD dst_unused:UNUSED_PAD src0_sel:DWORD src1_sel:WORD_1
	v_fma_f16 v59, v29, v79, -v19
	v_mul_f16_sdwa v29, v72, v1 dst_sel:DWORD dst_unused:UNUSED_PAD src0_sel:DWORD src1_sel:WORD_1
	v_mul_f16_sdwa v19, v30, v0 dst_sel:DWORD dst_unused:UNUSED_PAD src0_sel:DWORD src1_sel:WORD_1
	v_fma_f16 v60, v85, v81, -v22
	v_fma_f16 v23, v30, v0, -v23
	v_lshrrev_b32_e32 v78, 16, v86
	v_fma_f16 v30, v18, v1, -v29
	v_mul_f16_sdwa v29, v18, v1 dst_sel:DWORD dst_unused:UNUSED_PAD src0_sel:DWORD src1_sel:WORD_1
	s_waitcnt lgkmcnt(2)
	v_lshrrev_b32_e32 v80, 16, v10
	v_add_f16_e32 v83, v56, v62
	v_add_f16_e32 v84, v51, v61
	v_mul_f16_sdwa v22, v78, v2 dst_sel:DWORD dst_unused:UNUSED_PAD src0_sel:DWORD src1_sel:WORD_1
	v_fmac_f16_e32 v29, v72, v1
	s_waitcnt vmcnt(2)
	v_mul_f16_sdwa v72, v10, v87 dst_sel:DWORD dst_unused:UNUSED_PAD src0_sel:DWORD src1_sel:WORD_1
	v_mul_f16_sdwa v81, v80, v87 dst_sel:DWORD dst_unused:UNUSED_PAD src0_sel:DWORD src1_sel:WORD_1
	v_fmac_f16_e32 v19, v65, v0
	v_fma_f16 v22, v86, v2, -v22
	s_waitcnt lgkmcnt(1)
	v_lshrrev_b32_e32 v82, 16, v7
	s_waitcnt vmcnt(1)
	v_mul_f16_sdwa v1, v7, v88 dst_sel:DWORD dst_unused:UNUSED_PAD src0_sel:DWORD src1_sel:WORD_1
	v_fmac_f16_e32 v72, v80, v87
	s_waitcnt lgkmcnt(0)
	v_add_f16_e32 v80, v5, v71
	v_lshrrev_b32_e32 v65, 16, v5
	v_mul_f16_sdwa v18, v86, v2 dst_sel:DWORD dst_unused:UNUSED_PAD src0_sel:DWORD src1_sel:WORD_1
	v_fmac_f16_e32 v1, v82, v88
	v_mul_f16_sdwa v82, v82, v88 dst_sel:DWORD dst_unused:UNUSED_PAD src0_sel:DWORD src1_sel:WORD_1
	v_add_f16_e32 v80, v80, v70
	v_fma_f16 v10, v10, v87, -v81
	v_add_f16_e32 v81, v65, v67
	v_add_f16_e32 v85, v6, v50
	v_fma_f16 v7, v7, v88, -v82
	v_add_f16_e32 v82, v83, v66
	v_add_f16_e32 v83, v84, v63
	;; [unrolled: 1-line block ×3, first 2 shown]
	v_lshrrev_b32_e32 v80, 16, v6
	v_add_f16_e32 v87, v28, v48
	v_add_f16_e32 v88, v21, v31
	v_add_f16_e32 v81, v81, v68
	v_add_f16_e32 v85, v85, v49
	v_add_f16_e32 v86, v80, v32
	v_add_f16_e32 v87, v87, v59
	v_add_f16_e32 v88, v88, v52
	v_add_f16_e32 v81, v81, v73
	v_add_f16_e32 v82, v82, v69
	v_add_f16_e32 v86, v86, v33
	v_add_f16_e32 v83, v83, v64
	v_add_f16_e32 v85, v85, v57
	v_add_f16_e32 v87, v87, v60
	v_add_f16_e32 v88, v88, v53
	v_add_f16_e32 v86, v86, v54
	v_lshrrev_b32_e32 v79, 16, v9
	v_add_f16_e32 v84, v84, v76
	v_add_f16_e32 v81, v81, v74
	;; [unrolled: 1-line block ×8, first 2 shown]
	v_mul_f16_sdwa v0, v9, v3 dst_sel:DWORD dst_unused:UNUSED_PAD src0_sel:DWORD src1_sel:WORD_1
	v_mul_f16_sdwa v89, v79, v3 dst_sel:DWORD dst_unused:UNUSED_PAD src0_sel:DWORD src1_sel:WORD_1
	v_add_f16_e32 v90, v84, v82
	v_add_f16_e32 v91, v81, v83
	;; [unrolled: 1-line block ×4, first 2 shown]
	v_fmac_f16_e32 v18, v78, v2
	v_fmac_f16_e32 v0, v79, v3
	v_fma_f16 v2, v9, v3, -v89
	v_pack_b32_f16 v3, v90, v91
	v_pack_b32_f16 v9, v92, v93
	s_waitcnt vmcnt(0)
	s_barrier
	v_add_f16_e32 v78, v49, v57
	buffer_gl0_inv
	ds_write2_b32 v34, v3, v9 offset1:100
	v_add_f16_e32 v3, v50, v58
	v_lshrrev_b32_e32 v9, 16, v8
	v_fma_f16 v34, -0.5, v78, v6
	v_sub_f16_e32 v89, v57, v58
	v_mul_f16_sdwa v103, v8, v77 dst_sel:DWORD dst_unused:UNUSED_PAD src0_sel:DWORD src1_sel:WORD_1
	v_fmac_f16_e32 v6, -0.5, v3
	v_sub_f16_e32 v3, v49, v50
	v_mul_f16_sdwa v101, v9, v77 dst_sel:DWORD dst_unused:UNUSED_PAD src0_sel:DWORD src1_sel:WORD_1
	v_add_f16_e32 v78, v59, v60
	v_add_f16_e32 v79, v48, v7
	v_fmac_f16_e32 v103, v9, v77
	v_add_f16_e32 v89, v3, v89
	v_fma_f16 v101, v8, v77, -v101
	v_add_f16_e32 v3, v20, v30
	v_add_f16_e32 v9, v17, v2
	v_fma_f16 v78, -0.5, v78, v28
	v_fmac_f16_e32 v28, -0.5, v79
	v_sub_f16_e32 v79, v59, v48
	v_sub_f16_e32 v90, v60, v7
	v_fma_f16 v8, -0.5, v3, v4
	v_lshrrev_b32_e32 v3, 16, v4
	v_add_f16_e32 v107, v4, v17
	v_fmac_f16_e32 v4, -0.5, v9
	v_add_f16_e32 v9, v23, v22
	v_add_f16_e32 v108, v14, v101
	v_sub_f16_e32 v109, v23, v14
	v_sub_f16_e32 v110, v22, v101
	v_add_f16_e32 v91, v52, v53
	v_add_f16_e32 v92, v31, v1
	v_sub_f16_e32 v93, v52, v31
	v_sub_f16_e32 v94, v53, v1
	v_add_f16_e32 v79, v79, v90
	v_sub_f16_e32 v90, v52, v53
	v_add_f16_e32 v111, v19, v18
	v_fma_f16 v9, -0.5, v9, v12
	v_add_f16_e32 v112, v12, v14
	v_fmac_f16_e32 v12, -0.5, v108
	v_add_f16_e32 v108, v109, v110
	v_add_f16_e32 v110, v13, v103
	v_sub_f16_e32 v114, v19, v18
	v_fma_f16 v91, -0.5, v91, v21
	v_fmac_f16_e32 v21, -0.5, v92
	v_add_f16_e32 v92, v93, v94
	v_sub_f16_e32 v93, v59, v60
	v_fmamk_f16 v94, v90, 0xbb9c, v28
	v_fmac_f16_e32 v28, 0x3b9c, v90
	v_sub_f16_e32 v95, v31, v1
	v_fma_f16 v109, -0.5, v111, v11
	v_sub_f16_e32 v111, v19, v13
	v_sub_f16_e32 v113, v18, v103
	v_add_f16_e32 v116, v11, v13
	v_fmac_f16_e32 v11, -0.5, v110
	v_sub_f16_e32 v110, v23, v22
	v_fmamk_f16 v117, v114, 0xbb9c, v12
	v_fmac_f16_e32 v12, 0x3b9c, v114
	v_sub_f16_e32 v118, v13, v103
	v_sub_f16_e32 v96, v33, v54
	v_fmamk_f16 v97, v93, 0x3b9c, v21
	v_fmac_f16_e32 v21, 0xbb9c, v93
	v_sub_f16_e32 v98, v48, v7
	v_fmac_f16_e32 v28, 0xb8b4, v95
	v_sub_f16_e32 v115, v16, v29
	v_add_f16_e32 v111, v111, v113
	v_fmamk_f16 v113, v110, 0x3b9c, v11
	v_fmac_f16_e32 v11, 0xbb9c, v110
	v_sub_f16_e32 v119, v14, v101
	v_fmac_f16_e32 v12, 0xb8b4, v118
	v_fmamk_f16 v99, v96, 0xbb9c, v6
	v_fmac_f16_e32 v6, 0x3b9c, v96
	v_sub_f16_e32 v100, v32, v55
	v_fmac_f16_e32 v21, 0x38b4, v98
	v_fmac_f16_e32 v28, 0x34f2, v79
	v_sub_f16_e32 v77, v20, v17
	v_sub_f16_e32 v106, v30, v2
	v_fmamk_f16 v120, v115, 0xbb9c, v4
	v_fmac_f16_e32 v4, 0x3b9c, v115
	v_sub_f16_e32 v121, v15, v0
	v_fmac_f16_e32 v11, 0x38b4, v119
	v_fmac_f16_e32 v12, 0x34f2, v108
	;; [unrolled: 1-line block ×4, first 2 shown]
	v_mul_f16_e32 v102, 0x34f2, v28
	v_add_f16_e32 v77, v77, v106
	v_fmac_f16_e32 v4, 0xb8b4, v121
	v_fmac_f16_e32 v11, 0x34f2, v111
	v_mul_f16_e32 v106, 0x34f2, v12
	v_add_f16_e32 v104, v70, v75
	v_fmac_f16_e32 v6, 0x34f2, v89
	v_add_f16_e32 v105, v71, v76
	v_fma_f16 v102, v21, 0x3b9c, -v102
	v_fmac_f16_e32 v4, 0x34f2, v77
	v_fma_f16 v106, v11, 0x3b9c, -v106
	v_sub_f16_e32 v122, v71, v70
	v_sub_f16_e32 v123, v76, v75
	v_fma_f16 v104, -0.5, v104, v5
	v_fma_f16 v5, -0.5, v105, v5
	v_add_f16_e32 v105, v6, v102
	v_sub_f16_e32 v6, v6, v102
	v_sub_f16_e32 v102, v67, v74
	v_add_f16_e32 v124, v4, v106
	v_sub_f16_e32 v4, v4, v106
	v_add_f16_e32 v106, v122, v123
	v_sub_f16_e32 v122, v68, v73
	v_fmamk_f16 v123, v102, 0x3b9c, v104
	v_fmac_f16_e32 v104, 0xbb9c, v102
	v_sub_f16_e32 v125, v70, v71
	v_sub_f16_e32 v126, v75, v76
	v_fmamk_f16 v127, v122, 0xbb9c, v5
	v_fmac_f16_e32 v5, 0x3b9c, v122
	v_fmac_f16_e32 v123, 0x38b4, v122
	;; [unrolled: 1-line block ×3, first 2 shown]
	v_add_f16_e32 v122, v125, v126
	v_fmac_f16_e32 v127, 0x38b4, v102
	v_fmac_f16_e32 v5, 0xb8b4, v102
	v_add_f16_e32 v102, v68, v73
	v_sub_f16_e32 v71, v71, v76
	v_fmac_f16_e32 v123, 0x34f2, v106
	v_fmac_f16_e32 v127, 0x34f2, v122
	;; [unrolled: 1-line block ×3, first 2 shown]
	v_fma_f16 v76, -0.5, v102, v65
	v_sub_f16_e32 v102, v67, v68
	v_add_f16_e32 v122, v67, v74
	v_sub_f16_e32 v67, v68, v67
	v_sub_f16_e32 v68, v73, v74
	v_fmac_f16_e32 v104, 0x34f2, v106
	v_sub_f16_e32 v106, v74, v73
	v_sub_f16_e32 v70, v70, v75
	v_fmamk_f16 v75, v71, 0xbb9c, v76
	v_fmac_f16_e32 v76, 0x3b9c, v71
	v_fmac_f16_e32 v65, -0.5, v122
	v_add_f16_e32 v67, v67, v68
	v_add_f16_e32 v68, v66, v69
	;; [unrolled: 1-line block ×3, first 2 shown]
	v_fmac_f16_e32 v75, 0xb8b4, v70
	v_fmac_f16_e32 v76, 0x38b4, v70
	v_fmamk_f16 v73, v70, 0x3b9c, v65
	v_fmac_f16_e32 v65, 0xbb9c, v70
	v_sub_f16_e32 v70, v62, v66
	v_sub_f16_e32 v74, v10, v69
	v_fma_f16 v68, -0.5, v68, v56
	v_sub_f16_e32 v106, v61, v72
	v_fmac_f16_e32 v73, 0xb8b4, v71
	v_fmac_f16_e32 v65, 0x38b4, v71
	v_add_f16_e32 v70, v70, v74
	v_sub_f16_e32 v71, v63, v64
	v_fmamk_f16 v74, v106, 0x3b9c, v68
	v_fmac_f16_e32 v68, 0xbb9c, v106
	v_fmac_f16_e32 v75, 0x34f2, v102
	;; [unrolled: 1-line block ×3, first 2 shown]
	v_add_f16_e32 v102, v62, v10
	v_fmac_f16_e32 v74, 0x38b4, v71
	v_fmac_f16_e32 v68, 0xb8b4, v71
	;; [unrolled: 1-line block ×4, first 2 shown]
	v_fmac_f16_e32 v56, -0.5, v102
	v_fmac_f16_e32 v74, 0x34f2, v70
	v_add_f16_e32 v67, v63, v64
	v_fmac_f16_e32 v68, 0x34f2, v70
	v_add_f16_e32 v70, v61, v72
	v_sub_f16_e32 v102, v66, v62
	v_sub_f16_e32 v122, v69, v10
	v_fmamk_f16 v125, v71, 0xbb9c, v56
	v_sub_f16_e32 v10, v62, v10
	v_fma_f16 v62, -0.5, v67, v51
	v_sub_f16_e32 v66, v66, v69
	v_fmac_f16_e32 v51, -0.5, v70
	v_fmac_f16_e32 v56, 0x3b9c, v71
	v_add_f16_e32 v71, v102, v122
	v_fmac_f16_e32 v125, 0x38b4, v106
	v_sub_f16_e32 v67, v61, v63
	v_sub_f16_e32 v69, v72, v64
	v_fmamk_f16 v70, v10, 0xbb9c, v62
	v_sub_f16_e32 v61, v63, v61
	v_sub_f16_e32 v63, v64, v72
	v_fmamk_f16 v64, v66, 0x3b9c, v51
	v_fmac_f16_e32 v62, 0x3b9c, v10
	v_fmac_f16_e32 v51, 0xbb9c, v66
	;; [unrolled: 1-line block ×3, first 2 shown]
	v_add_f16_e32 v67, v67, v69
	v_fmac_f16_e32 v70, 0xb8b4, v66
	v_add_f16_e32 v61, v61, v63
	v_fmac_f16_e32 v64, 0xb8b4, v10
	v_fmac_f16_e32 v62, 0x38b4, v66
	;; [unrolled: 1-line block ×6, first 2 shown]
	v_mul_f16_e32 v63, 0xb8b4, v74
	v_fmac_f16_e32 v62, 0x34f2, v67
	v_fmac_f16_e32 v51, 0x34f2, v61
	v_mul_f16_e32 v61, 0xbb9c, v125
	v_fmac_f16_e32 v56, 0x34f2, v71
	v_mul_f16_e32 v10, 0x38b4, v70
	;; [unrolled: 2-line block ×3, first 2 shown]
	v_mul_f16_e32 v71, 0x3a79, v62
	v_fmac_f16_e32 v61, 0x34f2, v64
	v_mul_f16_e32 v66, 0x3b9c, v64
	v_fmac_f16_e32 v10, 0x3a79, v74
	v_mul_f16_e32 v67, 0x34f2, v56
	v_fma_f16 v56, v56, 0xbb9c, -v69
	v_fma_f16 v64, v68, 0xb8b4, -v71
	v_add_f16_e32 v72, v75, v63
	v_sub_f16_e32 v63, v75, v63
	v_add_f16_e32 v74, v73, v61
	v_sub_f16_e32 v61, v73, v61
	v_sub_f16_e32 v73, v50, v49
	;; [unrolled: 1-line block ×3, first 2 shown]
	v_fma_f16 v51, v51, 0x3b9c, -v67
	v_sub_f16_e32 v67, v84, v82
	v_sub_f16_e32 v71, v81, v83
	v_fmamk_f16 v81, v100, 0x3b9c, v34
	v_fmac_f16_e32 v34, 0xbb9c, v100
	v_add_f16_e32 v82, v65, v56
	v_sub_f16_e32 v56, v65, v56
	v_add_f16_e32 v65, v73, v75
	v_add_f16_e32 v73, v76, v64
	v_sub_f16_e32 v64, v76, v64
	v_add_f16_e32 v75, v33, v54
	v_add_f16_e32 v76, v32, v55
	v_fmac_f16_e32 v81, 0x38b4, v96
	v_fmac_f16_e32 v34, 0xb8b4, v96
	v_sub_f16_e32 v49, v49, v57
	v_fma_f16 v75, -0.5, v75, v80
	v_fmac_f16_e32 v80, -0.5, v76
	v_fmac_f16_e32 v81, 0x34f2, v65
	v_fmac_f16_e32 v34, 0x34f2, v65
	v_sub_f16_e32 v50, v50, v58
	v_sub_f16_e32 v58, v32, v33
	;; [unrolled: 1-line block ×5, first 2 shown]
	v_fmamk_f16 v54, v49, 0x3b9c, v80
	v_fmac_f16_e32 v80, 0xbb9c, v49
	v_fmac_f16_e32 v94, 0x38b4, v95
	v_add_f16_e32 v57, v58, v65
	v_fmamk_f16 v58, v50, 0xbb9c, v75
	v_fmac_f16_e32 v75, 0x3b9c, v50
	v_add_f16_e32 v32, v32, v33
	v_fmac_f16_e32 v54, 0xb8b4, v50
	v_fmac_f16_e32 v80, 0x38b4, v50
	v_fmac_f16_e32 v97, 0xb8b4, v98
	v_fmac_f16_e32 v94, 0x34f2, v79
	v_fmac_f16_e32 v58, 0xb8b4, v49
	v_fmac_f16_e32 v75, 0x38b4, v49
	v_sub_f16_e32 v31, v31, v52
	v_sub_f16_e32 v1, v1, v53
	v_fmamk_f16 v49, v98, 0xbb9c, v91
	v_fmac_f16_e32 v54, 0x34f2, v32
	v_fmac_f16_e32 v80, 0x34f2, v32
	;; [unrolled: 1-line block ×3, first 2 shown]
	v_mul_f16_e32 v32, 0xbb9c, v94
	v_sub_f16_e32 v48, v48, v59
	v_sub_f16_e32 v7, v7, v60
	v_fmamk_f16 v33, v95, 0x3b9c, v78
	v_fmac_f16_e32 v78, 0xbb9c, v95
	v_add_f16_e32 v1, v31, v1
	v_fmac_f16_e32 v49, 0xb8b4, v93
	v_fmac_f16_e32 v91, 0x3b9c, v98
	;; [unrolled: 1-line block ×5, first 2 shown]
	v_add_f16_e32 v7, v48, v7
	v_fmac_f16_e32 v33, 0x38b4, v90
	v_fmac_f16_e32 v78, 0xb8b4, v90
	;; [unrolled: 1-line block ×4, first 2 shown]
	v_add_f16_e32 v55, v54, v32
	v_sub_f16_e32 v32, v54, v32
	v_sub_f16_e32 v54, v17, v20
	;; [unrolled: 1-line block ×3, first 2 shown]
	v_fmac_f16_e32 v33, 0x34f2, v7
	v_fmac_f16_e32 v78, 0x34f2, v7
	v_mul_f16_e32 v7, 0x38b4, v49
	v_fmac_f16_e32 v91, 0x34f2, v1
	v_fmamk_f16 v59, v121, 0x3b9c, v8
	v_fmac_f16_e32 v8, 0xbb9c, v121
	v_add_f16_e32 v54, v54, v57
	v_add_f16_e32 v57, v107, v20
	v_mul_f16_e32 v31, 0xb8b4, v33
	v_fmac_f16_e32 v7, 0x3a79, v33
	v_mul_f16_e32 v21, 0x34f2, v21
	v_mul_f16_e32 v33, 0x3a79, v78
	;; [unrolled: 1-line block ×3, first 2 shown]
	v_fmac_f16_e32 v59, 0x38b4, v115
	v_fmac_f16_e32 v8, 0xb8b4, v115
	v_add_f16_e32 v57, v57, v30
	v_fma_f16 v21, v28, 0xbb9c, -v21
	v_fma_f16 v28, v91, 0x38b4, -v33
	;; [unrolled: 1-line block ×3, first 2 shown]
	v_fmac_f16_e32 v59, 0x34f2, v54
	v_fmac_f16_e32 v8, 0x34f2, v54
	v_add_f16_e32 v54, v57, v2
	v_add_f16_e32 v57, v3, v15
	;; [unrolled: 1-line block ×4, first 2 shown]
	v_sub_f16_e32 v33, v75, v33
	v_sub_f16_e32 v2, v17, v2
	;; [unrolled: 1-line block ×4, first 2 shown]
	v_add_f16_e32 v57, v57, v16
	v_fma_f16 v65, -0.5, v65, v3
	v_sub_f16_e32 v20, v20, v30
	v_add_f16_e32 v30, v15, v0
	v_add_f16_e32 v17, v17, v75
	;; [unrolled: 1-line block ×3, first 2 shown]
	v_fmamk_f16 v75, v2, 0xbb9c, v65
	v_fmac_f16_e32 v65, 0x3b9c, v2
	v_fmac_f16_e32 v3, -0.5, v30
	v_sub_f16_e32 v15, v16, v15
	v_add_f16_e32 v16, v57, v0
	v_fmac_f16_e32 v75, 0xb8b4, v20
	v_fmac_f16_e32 v65, 0x38b4, v20
	v_sub_f16_e32 v0, v29, v0
	v_fmamk_f16 v29, v20, 0x3b9c, v3
	v_fmac_f16_e32 v3, 0xbb9c, v20
	v_fmac_f16_e32 v75, 0x34f2, v17
	;; [unrolled: 1-line block ×3, first 2 shown]
	v_add_f16_e32 v0, v15, v0
	v_add_f16_e32 v15, v112, v23
	v_sub_f16_e32 v14, v14, v23
	v_sub_f16_e32 v17, v101, v22
	v_fmamk_f16 v20, v118, 0x3b9c, v9
	v_fmac_f16_e32 v9, 0xbb9c, v118
	v_fmac_f16_e32 v29, 0xb8b4, v2
	;; [unrolled: 1-line block ×3, first 2 shown]
	v_add_f16_e32 v2, v15, v22
	v_add_f16_e32 v14, v14, v17
	v_sub_f16_e32 v13, v13, v19
	v_sub_f16_e32 v15, v103, v18
	v_fmamk_f16 v17, v119, 0xbb9c, v109
	v_fmac_f16_e32 v20, 0x38b4, v114
	v_fmac_f16_e32 v109, 0x3b9c, v119
	;; [unrolled: 1-line block ×5, first 2 shown]
	v_add_f16_e32 v0, v2, v101
	v_add_f16_e32 v2, v13, v15
	v_fmac_f16_e32 v17, 0xb8b4, v110
	v_fmac_f16_e32 v117, 0x38b4, v118
	;; [unrolled: 1-line block ×6, first 2 shown]
	v_add_f16_e32 v13, v116, v19
	v_fmac_f16_e32 v17, 0x34f2, v2
	v_fmac_f16_e32 v117, 0x34f2, v108
	v_mul_f16_e32 v15, 0xb8b4, v20
	v_fmac_f16_e32 v113, 0x34f2, v111
	v_fmac_f16_e32 v99, 0x38b4, v100
	v_mul_f16_e32 v1, 0x3b9c, v97
	v_fmac_f16_e32 v109, 0x34f2, v2
	v_mul_f16_e32 v70, 0x3a79, v68
	v_fmac_f16_e32 v31, 0x3a79, v49
	v_add_f16_e32 v13, v13, v18
	v_mul_f16_e32 v11, 0x34f2, v11
	v_mul_f16_e32 v18, 0x3a79, v9
	;; [unrolled: 1-line block ×3, first 2 shown]
	v_fmac_f16_e32 v120, 0x38b4, v121
	v_fmac_f16_e32 v15, 0x3a79, v17
	v_mul_f16_e32 v2, 0x3b9c, v113
	v_mul_f16_e32 v17, 0xbb9c, v117
	v_fmac_f16_e32 v66, 0x34f2, v125
	v_fmac_f16_e32 v99, 0x34f2, v89
	v_fmac_f16_e32 v1, 0x34f2, v94
	v_mul_f16_e32 v19, 0x3a79, v109
	v_fma_f16 v62, v62, 0x38b4, -v70
	v_add_f16_e32 v70, v5, v51
	v_sub_f16_e32 v5, v5, v51
	v_add_f16_e32 v53, v58, v31
	v_sub_f16_e32 v31, v58, v31
	;; [unrolled: 2-line block ×3, first 2 shown]
	v_add_f16_e32 v13, v13, v103
	v_fma_f16 v11, v12, 0xbb9c, -v11
	v_fma_f16 v12, v109, 0x38b4, -v18
	v_add_f16_e32 v68, v123, v10
	v_sub_f16_e32 v10, v123, v10
	v_add_f16_e32 v49, v81, v7
	v_sub_f16_e32 v7, v81, v7
	v_fmac_f16_e32 v14, 0x3a79, v20
	v_fmac_f16_e32 v120, 0x34f2, v77
	;; [unrolled: 1-line block ×4, first 2 shown]
	v_add_f16_e32 v69, v127, v66
	v_add_f16_e32 v50, v99, v1
	v_fma_f16 v9, v9, 0xb8b4, -v19
	v_add_f16_e32 v51, v104, v62
	v_add_f16_e32 v52, v34, v28
	;; [unrolled: 1-line block ×4, first 2 shown]
	v_sub_f16_e32 v8, v8, v12
	v_add_f16_e32 v12, v16, v13
	v_pack_b32_f16 v5, v5, v56
	v_pack_b32_f16 v6, v6, v21
	v_add_f16_e32 v19, v59, v14
	v_sub_f16_e32 v13, v16, v13
	v_add_f16_e32 v16, v75, v15
	v_pack_b32_f16 v10, v10, v63
	v_pack_b32_f16 v7, v7, v31
	v_add_f16_e32 v20, v120, v2
	v_add_f16_e32 v23, v29, v17
	v_sub_f16_e32 v0, v54, v0
	v_sub_f16_e32 v17, v29, v17
	v_add_f16_e32 v29, v3, v11
	v_pack_b32_f16 v54, v69, v74
	v_pack_b32_f16 v50, v50, v55
	v_sub_f16_e32 v48, v85, v87
	v_sub_f16_e32 v28, v34, v28
	;; [unrolled: 1-line block ×4, first 2 shown]
	v_add_f16_e32 v11, v65, v9
	v_sub_f16_e32 v66, v127, v66
	v_sub_f16_e32 v14, v59, v14
	;; [unrolled: 1-line block ×3, first 2 shown]
	v_pack_b32_f16 v30, v68, v72
	v_pack_b32_f16 v51, v51, v73
	;; [unrolled: 1-line block ×3, first 2 shown]
	ds_write2_b32 v37, v5, v6 offset0:96 offset1:196
	v_pack_b32_f16 v6, v18, v12
	v_sub_f16_e32 v1, v99, v1
	v_sub_f16_e32 v2, v120, v2
	v_pack_b32_f16 v49, v49, v53
	ds_write2_b32 v36, v10, v7 offset0:8 offset1:108
	v_pack_b32_f16 v7, v19, v16
	v_sub_f16_e32 v62, v104, v62
	v_pack_b32_f16 v57, v70, v82
	v_pack_b32_f16 v10, v20, v23
	v_sub_f16_e32 v9, v65, v9
	ds_write2_b32 v25, v54, v50 offset0:88 offset1:188
	v_pack_b32_f16 v25, v105, v58
	v_pack_b32_f16 v12, v124, v29
	;; [unrolled: 1-line block ×7, first 2 shown]
	ds_write2_b32 v35, v51, v52 offset0:48 offset1:148
	ds_write2_b32 v38, v6, v30 offset0:72 offset1:172
	ds_write2_b32 v45, v49, v7 offset0:144 offset1:244
	ds_write2_b32 v41, v10, v57 offset0:32 offset1:132
	ds_write2_b32 v44, v25, v12 offset0:104 offset1:204
	ds_write2_b32 v40, v11, v59 offset0:120 offset1:220
	v_pack_b32_f16 v6, v14, v15
	v_pack_b32_f16 v1, v1, v32
	;; [unrolled: 1-line block ×7, first 2 shown]
	ds_write2_b32 v43, v21, v0 offset0:64 offset1:164
	ds_write2_b32 v39, v6, v61 offset0:80 offset1:180
	;; [unrolled: 1-line block ×5, first 2 shown]
	s_waitcnt lgkmcnt(0)
	s_barrier
	buffer_gl0_inv
	s_and_saveexec_b32 s0, vcc_lo
	s_cbranch_execz .LBB0_19
; %bb.18:
	v_lshl_add_u32 v16, v24, 2, 0
	v_mov_b32_e32 v25, 0
	v_add_co_u32 v17, vcc_lo, s2, v26
	v_add_co_ci_u32_e32 v18, vcc_lo, s3, v27, vcc_lo
	ds_read2_b32 v[0:1], v16 offset1:100
	v_lshlrev_b64 v[8:9], 2, v[24:25]
	v_add_nc_u32_e32 v2, 0x64, v24
	v_mov_b32_e32 v3, v25
	v_add_nc_u32_e32 v10, 0x200, v16
	v_add_nc_u32_e32 v11, 0x400, v16
	;; [unrolled: 1-line block ×3, first 2 shown]
	v_add_co_u32 v8, vcc_lo, v17, v8
	v_add_co_ci_u32_e32 v9, vcc_lo, v18, v9, vcc_lo
	v_mov_b32_e32 v5, v25
	v_lshlrev_b64 v[2:3], 2, v[2:3]
	v_add_nc_u32_e32 v6, 0x12c, v24
	v_mov_b32_e32 v7, v25
	ds_read2_b32 v[12:13], v11 offset0:144 offset1:244
	v_lshlrev_b64 v[4:5], 2, v[4:5]
	v_mov_b32_e32 v11, v25
	v_add_co_u32 v2, vcc_lo, v17, v2
	s_waitcnt lgkmcnt(1)
	global_store_dword v[8:9], v0, off
	ds_read2_b32 v[8:9], v10 offset0:72 offset1:172
	v_add_nc_u32_e32 v10, 0x190, v24
	v_lshlrev_b64 v[6:7], 2, v[6:7]
	v_add_co_ci_u32_e32 v3, vcc_lo, v18, v3, vcc_lo
	v_add_co_u32 v4, vcc_lo, v17, v4
	v_lshlrev_b64 v[10:11], 2, v[10:11]
	v_add_co_ci_u32_e32 v5, vcc_lo, v18, v5, vcc_lo
	v_add_co_u32 v6, vcc_lo, v17, v6
	v_add_co_ci_u32_e32 v7, vcc_lo, v18, v7, vcc_lo
	v_add_co_u32 v10, vcc_lo, v17, v10
	v_add_co_ci_u32_e32 v11, vcc_lo, v18, v11, vcc_lo
	v_add_nc_u32_e32 v14, 0x1f4, v24
	v_mov_b32_e32 v15, v25
	global_store_dword v[2:3], v1, off
	s_waitcnt lgkmcnt(0)
	global_store_dword v[4:5], v8, off
	global_store_dword v[6:7], v9, off
	;; [unrolled: 1-line block ×3, first 2 shown]
	v_add_nc_u32_e32 v6, 0x800, v16
	v_add_nc_u32_e32 v9, 0xc00, v16
	v_add_nc_u32_e32 v2, 0x258, v24
	v_mov_b32_e32 v3, v25
	v_lshlrev_b64 v[0:1], 2, v[14:15]
	ds_read2_b32 v[6:7], v6 offset0:88 offset1:188
	v_add_nc_u32_e32 v4, 0x2bc, v24
	v_mov_b32_e32 v5, v25
	ds_read2_b32 v[10:11], v9 offset0:32 offset1:132
	v_lshlrev_b64 v[2:3], 2, v[2:3]
	v_add_nc_u32_e32 v8, 0x320, v24
	v_mov_b32_e32 v9, v25
	v_add_co_u32 v0, vcc_lo, v17, v0
	v_lshlrev_b64 v[4:5], 2, v[4:5]
	v_add_co_ci_u32_e32 v1, vcc_lo, v18, v1, vcc_lo
	v_add_co_u32 v2, vcc_lo, v17, v2
	v_lshlrev_b64 v[8:9], 2, v[8:9]
	v_add_co_ci_u32_e32 v3, vcc_lo, v18, v3, vcc_lo
	v_add_co_u32 v4, vcc_lo, v17, v4
	v_add_co_ci_u32_e32 v5, vcc_lo, v18, v5, vcc_lo
	v_add_co_u32 v8, vcc_lo, v17, v8
	v_add_co_ci_u32_e32 v9, vcc_lo, v18, v9, vcc_lo
	v_add_nc_u32_e32 v14, 0x384, v24
	global_store_dword v[0:1], v13, off
	s_waitcnt lgkmcnt(1)
	global_store_dword v[2:3], v6, off
	global_store_dword v[4:5], v7, off
	s_waitcnt lgkmcnt(0)
	global_store_dword v[8:9], v10, off
	v_add_nc_u32_e32 v6, 0xe00, v16
	v_add_nc_u32_e32 v9, 0x1200, v16
	v_add_nc_u32_e32 v2, 0x3e8, v24
	v_mov_b32_e32 v3, v25
	v_lshlrev_b64 v[0:1], 2, v[14:15]
	ds_read2_b32 v[6:7], v6 offset0:104 offset1:204
	v_add_nc_u32_e32 v4, 0x44c, v24
	v_mov_b32_e32 v5, v25
	ds_read2_b32 v[12:13], v9 offset0:48 offset1:148
	v_lshlrev_b64 v[2:3], 2, v[2:3]
	v_add_nc_u32_e32 v8, 0x4b0, v24
	v_mov_b32_e32 v9, v25
	v_add_co_u32 v0, vcc_lo, v17, v0
	v_lshlrev_b64 v[4:5], 2, v[4:5]
	v_add_co_ci_u32_e32 v1, vcc_lo, v18, v1, vcc_lo
	v_add_co_u32 v2, vcc_lo, v17, v2
	v_lshlrev_b64 v[8:9], 2, v[8:9]
	v_add_co_ci_u32_e32 v3, vcc_lo, v18, v3, vcc_lo
	v_add_co_u32 v4, vcc_lo, v17, v4
	v_add_co_ci_u32_e32 v5, vcc_lo, v18, v5, vcc_lo
	v_add_co_u32 v8, vcc_lo, v17, v8
	v_add_co_ci_u32_e32 v9, vcc_lo, v18, v9, vcc_lo
	v_add_nc_u32_e32 v14, 0x514, v24
	global_store_dword v[0:1], v11, off
	s_waitcnt lgkmcnt(1)
	global_store_dword v[2:3], v6, off
	global_store_dword v[4:5], v7, off
	s_waitcnt lgkmcnt(0)
	global_store_dword v[8:9], v12, off
	v_add_nc_u32_e32 v6, 0x1400, v16
	v_add_nc_u32_e32 v9, 0x1800, v16
	v_add_nc_u32_e32 v2, 0x578, v24
	v_mov_b32_e32 v3, v25
	v_lshlrev_b64 v[0:1], 2, v[14:15]
	ds_read2_b32 v[6:7], v6 offset0:120 offset1:220
	v_add_nc_u32_e32 v4, 0x5dc, v24
	v_mov_b32_e32 v5, v25
	ds_read2_b32 v[10:11], v9 offset0:64 offset1:164
	v_lshlrev_b64 v[2:3], 2, v[2:3]
	v_add_nc_u32_e32 v8, 0x640, v24
	v_mov_b32_e32 v9, v25
	v_add_co_u32 v0, vcc_lo, v17, v0
	v_lshlrev_b64 v[4:5], 2, v[4:5]
	v_add_co_ci_u32_e32 v1, vcc_lo, v18, v1, vcc_lo
	v_add_co_u32 v2, vcc_lo, v17, v2
	v_lshlrev_b64 v[8:9], 2, v[8:9]
	v_add_co_ci_u32_e32 v3, vcc_lo, v18, v3, vcc_lo
	v_add_co_u32 v4, vcc_lo, v17, v4
	v_add_co_ci_u32_e32 v5, vcc_lo, v18, v5, vcc_lo
	v_add_co_u32 v8, vcc_lo, v17, v8
	v_add_co_ci_u32_e32 v9, vcc_lo, v18, v9, vcc_lo
	v_add_nc_u32_e32 v14, 0x6a4, v24
	global_store_dword v[0:1], v13, off
	s_waitcnt lgkmcnt(1)
	global_store_dword v[2:3], v6, off
	global_store_dword v[4:5], v7, off
	s_waitcnt lgkmcnt(0)
	global_store_dword v[8:9], v10, off
	v_add_nc_u32_e32 v6, 0x1c00, v16
	v_add_nc_u32_e32 v9, 0x1e00, v16
	v_add_nc_u32_e32 v2, 0x708, v24
	v_mov_b32_e32 v3, v25
	v_lshlrev_b64 v[0:1], 2, v[14:15]
	ds_read2_b32 v[6:7], v6 offset0:8 offset1:108
	v_add_nc_u32_e32 v4, 0x76c, v24
	v_mov_b32_e32 v5, v25
	ds_read2_b32 v[12:13], v9 offset0:80 offset1:180
	v_lshlrev_b64 v[2:3], 2, v[2:3]
	v_add_nc_u32_e32 v8, 0x7d0, v24
	v_mov_b32_e32 v9, v25
	v_add_co_u32 v0, vcc_lo, v17, v0
	v_lshlrev_b64 v[4:5], 2, v[4:5]
	v_add_co_ci_u32_e32 v1, vcc_lo, v18, v1, vcc_lo
	v_add_co_u32 v2, vcc_lo, v17, v2
	v_lshlrev_b64 v[8:9], 2, v[8:9]
	v_add_co_ci_u32_e32 v3, vcc_lo, v18, v3, vcc_lo
	v_add_co_u32 v4, vcc_lo, v17, v4
	v_add_co_ci_u32_e32 v5, vcc_lo, v18, v5, vcc_lo
	v_add_co_u32 v8, vcc_lo, v17, v8
	v_add_co_ci_u32_e32 v9, vcc_lo, v18, v9, vcc_lo
	v_add_nc_u32_e32 v14, 0x834, v24
	global_store_dword v[0:1], v11, off
	s_waitcnt lgkmcnt(1)
	global_store_dword v[2:3], v6, off
	global_store_dword v[4:5], v7, off
	s_waitcnt lgkmcnt(0)
	global_store_dword v[8:9], v12, off
	v_add_nc_u32_e32 v6, 0x2000, v16
	v_add_nc_u32_e32 v9, 0x2400, v16
	v_add_nc_u32_e32 v2, 0x898, v24
	v_mov_b32_e32 v3, v25
	v_lshlrev_b64 v[0:1], 2, v[14:15]
	ds_read2_b32 v[6:7], v6 offset0:152 offset1:252
	v_add_nc_u32_e32 v4, 0x8fc, v24
	v_mov_b32_e32 v5, v25
	ds_read2_b32 v[10:11], v9 offset0:96 offset1:196
	v_lshlrev_b64 v[2:3], 2, v[2:3]
	v_add_nc_u32_e32 v8, 0x960, v24
	v_mov_b32_e32 v9, v25
	v_add_co_u32 v0, vcc_lo, v17, v0
	v_lshlrev_b64 v[4:5], 2, v[4:5]
	v_add_co_ci_u32_e32 v1, vcc_lo, v18, v1, vcc_lo
	v_add_co_u32 v2, vcc_lo, v17, v2
	v_lshlrev_b64 v[8:9], 2, v[8:9]
	v_add_co_ci_u32_e32 v3, vcc_lo, v18, v3, vcc_lo
	v_add_co_u32 v4, vcc_lo, v17, v4
	v_add_co_ci_u32_e32 v5, vcc_lo, v18, v5, vcc_lo
	v_add_co_u32 v8, vcc_lo, v17, v8
	v_add_co_ci_u32_e32 v9, vcc_lo, v18, v9, vcc_lo
	v_add_nc_u32_e32 v14, 0x9c4, v24
	global_store_dword v[0:1], v13, off
	s_waitcnt lgkmcnt(1)
	global_store_dword v[2:3], v6, off
	global_store_dword v[4:5], v7, off
	s_waitcnt lgkmcnt(0)
	global_store_dword v[8:9], v10, off
	v_add_nc_u32_e32 v6, 0x2800, v16
	v_add_nc_u32_e32 v2, 0xa28, v24
	v_mov_b32_e32 v3, v25
	v_add_nc_u32_e32 v10, 0x2a00, v16
	v_lshlrev_b64 v[0:1], 2, v[14:15]
	v_add_nc_u32_e32 v4, 0xa8c, v24
	v_mov_b32_e32 v5, v25
	ds_read2_b32 v[6:7], v6 offset0:40 offset1:140
	v_lshlrev_b64 v[2:3], 2, v[2:3]
	v_add_nc_u32_e32 v8, 0xaf0, v24
	v_mov_b32_e32 v9, v25
	ds_read2_b32 v[12:13], v10 offset0:112 offset1:212
	v_add_co_u32 v0, vcc_lo, v17, v0
	v_lshlrev_b64 v[4:5], 2, v[4:5]
	v_add_nc_u32_e32 v24, 0xb54, v24
	v_add_co_ci_u32_e32 v1, vcc_lo, v18, v1, vcc_lo
	v_add_co_u32 v2, vcc_lo, v17, v2
	v_lshlrev_b64 v[8:9], 2, v[8:9]
	v_add_co_ci_u32_e32 v3, vcc_lo, v18, v3, vcc_lo
	v_add_co_u32 v4, vcc_lo, v17, v4
	v_lshlrev_b64 v[14:15], 2, v[24:25]
	v_add_co_ci_u32_e32 v5, vcc_lo, v18, v5, vcc_lo
	v_add_co_u32 v8, vcc_lo, v17, v8
	v_add_co_ci_u32_e32 v9, vcc_lo, v18, v9, vcc_lo
	v_add_co_u32 v14, vcc_lo, v17, v14
	v_add_co_ci_u32_e32 v15, vcc_lo, v18, v15, vcc_lo
	global_store_dword v[0:1], v11, off
	s_waitcnt lgkmcnt(1)
	global_store_dword v[2:3], v6, off
	global_store_dword v[4:5], v7, off
	s_waitcnt lgkmcnt(0)
	global_store_dword v[8:9], v12, off
	global_store_dword v[14:15], v13, off
.LBB0_19:
	s_endpgm
	.section	.rodata,"a",@progbits
	.p2align	6, 0x0
	.amdhsa_kernel fft_rtc_fwd_len3000_factors_10_3_10_10_wgs_100_tpt_100_halfLds_half_ip_CI_unitstride_sbrr_C2R_dirReg
		.amdhsa_group_segment_fixed_size 0
		.amdhsa_private_segment_fixed_size 0
		.amdhsa_kernarg_size 88
		.amdhsa_user_sgpr_count 6
		.amdhsa_user_sgpr_private_segment_buffer 1
		.amdhsa_user_sgpr_dispatch_ptr 0
		.amdhsa_user_sgpr_queue_ptr 0
		.amdhsa_user_sgpr_kernarg_segment_ptr 1
		.amdhsa_user_sgpr_dispatch_id 0
		.amdhsa_user_sgpr_flat_scratch_init 0
		.amdhsa_user_sgpr_private_segment_size 0
		.amdhsa_wavefront_size32 1
		.amdhsa_uses_dynamic_stack 0
		.amdhsa_system_sgpr_private_segment_wavefront_offset 0
		.amdhsa_system_sgpr_workgroup_id_x 1
		.amdhsa_system_sgpr_workgroup_id_y 0
		.amdhsa_system_sgpr_workgroup_id_z 0
		.amdhsa_system_sgpr_workgroup_info 0
		.amdhsa_system_vgpr_workitem_id 0
		.amdhsa_next_free_vgpr 148
		.amdhsa_next_free_sgpr 21
		.amdhsa_reserve_vcc 1
		.amdhsa_reserve_flat_scratch 0
		.amdhsa_float_round_mode_32 0
		.amdhsa_float_round_mode_16_64 0
		.amdhsa_float_denorm_mode_32 3
		.amdhsa_float_denorm_mode_16_64 3
		.amdhsa_dx10_clamp 1
		.amdhsa_ieee_mode 1
		.amdhsa_fp16_overflow 0
		.amdhsa_workgroup_processor_mode 1
		.amdhsa_memory_ordered 1
		.amdhsa_forward_progress 0
		.amdhsa_shared_vgpr_count 0
		.amdhsa_exception_fp_ieee_invalid_op 0
		.amdhsa_exception_fp_denorm_src 0
		.amdhsa_exception_fp_ieee_div_zero 0
		.amdhsa_exception_fp_ieee_overflow 0
		.amdhsa_exception_fp_ieee_underflow 0
		.amdhsa_exception_fp_ieee_inexact 0
		.amdhsa_exception_int_div_zero 0
	.end_amdhsa_kernel
	.text
.Lfunc_end0:
	.size	fft_rtc_fwd_len3000_factors_10_3_10_10_wgs_100_tpt_100_halfLds_half_ip_CI_unitstride_sbrr_C2R_dirReg, .Lfunc_end0-fft_rtc_fwd_len3000_factors_10_3_10_10_wgs_100_tpt_100_halfLds_half_ip_CI_unitstride_sbrr_C2R_dirReg
                                        ; -- End function
	.section	.AMDGPU.csdata,"",@progbits
; Kernel info:
; codeLenInByte = 20824
; NumSgprs: 23
; NumVgprs: 148
; ScratchSize: 0
; MemoryBound: 0
; FloatMode: 240
; IeeeMode: 1
; LDSByteSize: 0 bytes/workgroup (compile time only)
; SGPRBlocks: 2
; VGPRBlocks: 18
; NumSGPRsForWavesPerEU: 23
; NumVGPRsForWavesPerEU: 148
; Occupancy: 6
; WaveLimiterHint : 1
; COMPUTE_PGM_RSRC2:SCRATCH_EN: 0
; COMPUTE_PGM_RSRC2:USER_SGPR: 6
; COMPUTE_PGM_RSRC2:TRAP_HANDLER: 0
; COMPUTE_PGM_RSRC2:TGID_X_EN: 1
; COMPUTE_PGM_RSRC2:TGID_Y_EN: 0
; COMPUTE_PGM_RSRC2:TGID_Z_EN: 0
; COMPUTE_PGM_RSRC2:TIDIG_COMP_CNT: 0
	.text
	.p2alignl 6, 3214868480
	.fill 48, 4, 3214868480
	.type	__hip_cuid_d5bc374068663a5a,@object ; @__hip_cuid_d5bc374068663a5a
	.section	.bss,"aw",@nobits
	.globl	__hip_cuid_d5bc374068663a5a
__hip_cuid_d5bc374068663a5a:
	.byte	0                               ; 0x0
	.size	__hip_cuid_d5bc374068663a5a, 1

	.ident	"AMD clang version 19.0.0git (https://github.com/RadeonOpenCompute/llvm-project roc-6.4.0 25133 c7fe45cf4b819c5991fe208aaa96edf142730f1d)"
	.section	".note.GNU-stack","",@progbits
	.addrsig
	.addrsig_sym __hip_cuid_d5bc374068663a5a
	.amdgpu_metadata
---
amdhsa.kernels:
  - .args:
      - .actual_access:  read_only
        .address_space:  global
        .offset:         0
        .size:           8
        .value_kind:     global_buffer
      - .offset:         8
        .size:           8
        .value_kind:     by_value
      - .actual_access:  read_only
        .address_space:  global
        .offset:         16
        .size:           8
        .value_kind:     global_buffer
      - .actual_access:  read_only
        .address_space:  global
        .offset:         24
        .size:           8
        .value_kind:     global_buffer
      - .offset:         32
        .size:           8
        .value_kind:     by_value
      - .actual_access:  read_only
        .address_space:  global
        .offset:         40
        .size:           8
        .value_kind:     global_buffer
      - .actual_access:  read_only
        .address_space:  global
        .offset:         48
        .size:           8
        .value_kind:     global_buffer
      - .offset:         56
        .size:           4
        .value_kind:     by_value
      - .actual_access:  read_only
        .address_space:  global
        .offset:         64
        .size:           8
        .value_kind:     global_buffer
      - .actual_access:  read_only
        .address_space:  global
        .offset:         72
        .size:           8
        .value_kind:     global_buffer
      - .address_space:  global
        .offset:         80
        .size:           8
        .value_kind:     global_buffer
    .group_segment_fixed_size: 0
    .kernarg_segment_align: 8
    .kernarg_segment_size: 88
    .language:       OpenCL C
    .language_version:
      - 2
      - 0
    .max_flat_workgroup_size: 100
    .name:           fft_rtc_fwd_len3000_factors_10_3_10_10_wgs_100_tpt_100_halfLds_half_ip_CI_unitstride_sbrr_C2R_dirReg
    .private_segment_fixed_size: 0
    .sgpr_count:     23
    .sgpr_spill_count: 0
    .symbol:         fft_rtc_fwd_len3000_factors_10_3_10_10_wgs_100_tpt_100_halfLds_half_ip_CI_unitstride_sbrr_C2R_dirReg.kd
    .uniform_work_group_size: 1
    .uses_dynamic_stack: false
    .vgpr_count:     148
    .vgpr_spill_count: 0
    .wavefront_size: 32
    .workgroup_processor_mode: 1
amdhsa.target:   amdgcn-amd-amdhsa--gfx1030
amdhsa.version:
  - 1
  - 2
...

	.end_amdgpu_metadata
